;; amdgpu-corpus repo=ROCm/rocBLAS kind=compiled arch=gfx906 opt=O3
	.amdgcn_target "amdgcn-amd-amdhsa--gfx906"
	.amdhsa_code_object_version 6
	.section	.text._ZL19rocblas_rotg_kernelILi32EPfS0_EvT0_llS1_llT1_llS1_lli,"axG",@progbits,_ZL19rocblas_rotg_kernelILi32EPfS0_EvT0_llS1_llT1_llS1_lli,comdat
	.globl	_ZL19rocblas_rotg_kernelILi32EPfS0_EvT0_llS1_llT1_llS1_lli ; -- Begin function _ZL19rocblas_rotg_kernelILi32EPfS0_EvT0_llS1_llT1_llS1_lli
	.p2align	8
	.type	_ZL19rocblas_rotg_kernelILi32EPfS0_EvT0_llS1_llT1_llS1_lli,@function
_ZL19rocblas_rotg_kernelILi32EPfS0_EvT0_llS1_llT1_llS1_lli: ; @_ZL19rocblas_rotg_kernelILi32EPfS0_EvT0_llS1_llT1_llS1_lli
; %bb.0:
	s_load_dword s0, s[4:5], 0x60
	v_lshl_or_b32 v4, s6, 5, v0
	s_waitcnt lgkmcnt(0)
	v_cmp_gt_i32_e32 vcc, s0, v4
	s_and_saveexec_b64 s[0:1], vcc
	s_cbranch_execz .LBB0_10
; %bb.1:
	s_load_dwordx16 s[8:23], s[4:5], 0x0
	s_waitcnt lgkmcnt(0)
	v_mad_u64_u32 v[0:1], s[0:1], s12, v4, 0
	v_mad_u64_u32 v[2:3], s[0:1], s18, v4, 0
	v_mov_b32_e32 v7, s9
	v_mov_b32_e32 v9, s21
	v_mad_u64_u32 v[5:6], s[0:1], s13, v4, v[1:2]
	s_lshl_b64 s[0:1], s[10:11], 2
	v_mov_b32_e32 v8, s1
	v_mov_b32_e32 v1, v5
	v_lshlrev_b64 v[0:1], 2, v[0:1]
	v_mad_u64_u32 v[5:6], s[2:3], s19, v4, v[3:4]
	v_add_co_u32_e32 v0, vcc, s8, v0
	v_addc_co_u32_e32 v1, vcc, v7, v1, vcc
	v_add_co_u32_e32 v0, vcc, s0, v0
	v_addc_co_u32_e32 v1, vcc, v1, v8, vcc
	global_load_dword v8, v[0:1], off
	v_mov_b32_e32 v3, v5
	v_lshlrev_b64 v[2:3], 2, v[2:3]
	v_mov_b32_e32 v5, s15
	v_add_co_u32_e32 v2, vcc, s14, v2
	v_addc_co_u32_e32 v3, vcc, v5, v3, vcc
	s_lshl_b64 s[0:1], s[16:17], 2
	v_mov_b32_e32 v5, s1
	v_add_co_u32_e32 v2, vcc, s0, v2
	v_addc_co_u32_e32 v3, vcc, v3, v5, vcc
	global_load_dword v10, v[2:3], off
	s_load_dwordx8 s[8:15], s[4:5], 0x40
	s_waitcnt lgkmcnt(0)
	v_mad_u64_u32 v[11:12], s[2:3], s14, v4, 0
	v_mad_u64_u32 v[5:6], s[0:1], s8, v4, 0
	v_mov_b32_e32 v7, v12
	v_mov_b32_e32 v15, s11
	v_mad_u64_u32 v[12:13], s[4:5], s9, v4, v[6:7]
	s_lshl_b64 s[0:1], s[22:23], 2
	s_lshl_b64 s[2:3], s[12:13], 2
	v_mov_b32_e32 v6, v12
	v_mov_b32_e32 v16, s3
	s_waitcnt vmcnt(1)
	v_mad_u64_u32 v[13:14], s[4:5], s15, v4, v[7:8]
	v_lshlrev_b64 v[4:5], 2, v[5:6]
	v_mov_b32_e32 v14, s1
	v_mov_b32_e32 v12, v13
	v_lshlrev_b64 v[6:7], 2, v[11:12]
	v_add_co_u32_e32 v4, vcc, s20, v4
	v_addc_co_u32_e32 v5, vcc, v9, v5, vcc
	v_add_co_u32_e32 v6, vcc, s10, v6
	v_addc_co_u32_e32 v7, vcc, v15, v7, vcc
	;; [unrolled: 2-line block ×4, first 2 shown]
	v_cmp_gt_f32_e32 vcc, 0, v8
	v_cndmask_b32_e64 v12, v8, -v8, vcc
	s_waitcnt vmcnt(0)
	v_cmp_gt_f32_e32 vcc, 0, v10
	v_cndmask_b32_e64 v13, v10, -v10, vcc
	v_add_f32_e32 v11, v12, v13
	v_cmp_neq_f32_e32 vcc, 0, v11
                                        ; implicit-def: $vgpr14
                                        ; implicit-def: $vgpr9
	s_and_saveexec_b64 s[0:1], vcc
	s_xor_b64 s[2:3], exec, s[0:1]
	s_cbranch_execz .LBB0_7
; %bb.2:
	v_div_scale_f32 v9, s[0:1], v11, v11, v8
	v_div_scale_f32 v14, s[0:1], v11, v11, v10
	v_div_scale_f32 v15, vcc, v8, v11, v8
	s_brev_b32 s4, -2
	v_rcp_f32_e32 v16, v9
	v_rcp_f32_e32 v17, v14
	v_fma_f32 v18, -v9, v16, 1.0
	v_fmac_f32_e32 v16, v18, v16
	v_fma_f32 v19, -v14, v17, 1.0
	v_mul_f32_e32 v18, v15, v16
	v_fmac_f32_e32 v17, v19, v17
	v_fma_f32 v19, -v9, v18, v15
	v_fmac_f32_e32 v18, v19, v16
	v_div_scale_f32 v19, s[0:1], v10, v11, v10
	v_fma_f32 v9, -v9, v18, v15
	v_div_fmas_f32 v9, v9, v16, v18
	s_mov_b64 vcc, s[0:1]
	s_mov_b32 s0, 0xf800000
	v_mov_b32_e32 v15, 0x260
	v_mul_f32_e32 v20, v19, v17
	v_fma_f32 v21, -v14, v20, v19
	v_fmac_f32_e32 v20, v21, v17
	v_fma_f32 v14, -v14, v20, v19
	v_div_fmas_f32 v14, v14, v17, v20
	v_div_fixup_f32 v9, v9, v11, v8
	v_div_fixup_f32 v14, v14, v11, v10
	v_mul_f32_e32 v14, v14, v14
	v_fmac_f32_e32 v14, v9, v9
	v_mul_f32_e32 v9, 0x4f800000, v14
	v_cmp_gt_f32_e32 vcc, s0, v14
	v_cndmask_b32_e32 v9, v14, v9, vcc
	v_sqrt_f32_e32 v14, v9
	v_cmp_gt_f32_e64 s[0:1], v12, v13
	v_cndmask_b32_e64 v10, v10, v8, s[0:1]
	v_add_u32_e32 v12, -1, v14
	v_add_u32_e32 v13, 1, v14
	v_fma_f32 v16, -v12, v14, v9
	v_fma_f32 v17, -v13, v14, v9
	v_cmp_ge_f32_e64 s[0:1], 0, v16
	v_cndmask_b32_e64 v12, v14, v12, s[0:1]
	v_cmp_lt_f32_e64 s[0:1], 0, v17
	v_cndmask_b32_e64 v12, v12, v13, s[0:1]
	v_mul_f32_e32 v13, 0x37800000, v12
	v_cndmask_b32_e32 v12, v12, v13, vcc
	v_cmp_class_f32_e32 vcc, v9, v15
	v_cndmask_b32_e32 v9, v12, v9, vcc
	v_mul_f32_e32 v9, v11, v9
	v_bfi_b32 v9, s4, v9, v10
	v_div_scale_f32 v10, s[0:1], v9, v9, v8
	v_div_scale_f32 v11, vcc, v8, v9, v8
	v_rcp_f32_e32 v12, v10
	v_fma_f32 v13, -v10, v12, 1.0
	v_fmac_f32_e32 v12, v13, v12
	v_mul_f32_e32 v13, v11, v12
	v_fma_f32 v14, -v10, v13, v11
	v_fmac_f32_e32 v13, v14, v12
	v_fma_f32 v10, -v10, v13, v11
	v_div_fmas_f32 v10, v10, v12, v13
	v_div_fixup_f32 v8, v10, v9, v8
	global_store_dword v[4:5], v8, off
	global_load_dword v8, v[2:3], off
	s_waitcnt vmcnt(0)
	v_div_scale_f32 v10, s[0:1], v9, v9, v8
	v_div_scale_f32 v11, vcc, v8, v9, v8
	v_rcp_f32_e32 v12, v10
	v_fma_f32 v13, -v10, v12, 1.0
	v_fmac_f32_e32 v12, v13, v12
	v_mul_f32_e32 v13, v11, v12
	v_fma_f32 v14, -v10, v13, v11
	v_fmac_f32_e32 v13, v14, v12
	v_fma_f32 v10, -v10, v13, v11
	v_div_fmas_f32 v10, v10, v12, v13
	v_div_fixup_f32 v8, v10, v9, v8
	global_store_dword v[6:7], v8, off
	global_load_dword v6, v[0:1], off
	s_nop 0
	global_load_dword v7, v[2:3], off
	s_waitcnt vmcnt(1)
	v_cmp_gt_f32_e32 vcc, 0, v6
	v_cndmask_b32_e64 v6, v6, -v6, vcc
	s_waitcnt vmcnt(0)
	v_cmp_gt_f32_e32 vcc, 0, v7
	v_cndmask_b32_e64 v7, v7, -v7, vcc
	v_cmp_gt_f32_e32 vcc, v6, v7
	v_cndmask_b32_e32 v14, 1.0, v8, vcc
	v_cmp_ge_f32_e32 vcc, v7, v6
	s_and_saveexec_b64 s[0:1], vcc
	s_cbranch_execz .LBB0_6
; %bb.3:
	global_load_dword v4, v[4:5], off
	s_waitcnt vmcnt(0)
	v_cmp_neq_f32_e32 vcc, 0, v4
	s_and_saveexec_b64 s[4:5], vcc
	s_cbranch_execz .LBB0_5
; %bb.4:
	v_div_scale_f32 v5, s[6:7], v4, v4, 1.0
	v_div_scale_f32 v6, vcc, 1.0, v4, 1.0
	v_rcp_f32_e32 v7, v5
	v_fma_f32 v8, -v5, v7, 1.0
	v_fmac_f32_e32 v7, v8, v7
	v_mul_f32_e32 v8, v6, v7
	v_fma_f32 v10, -v5, v8, v6
	v_fmac_f32_e32 v8, v10, v7
	v_fma_f32 v5, -v5, v8, v6
	v_div_fmas_f32 v5, v5, v7, v8
	v_div_fixup_f32 v14, v5, v4, 1.0
.LBB0_5:
	s_or_b64 exec, exec, s[4:5]
.LBB0_6:
	s_or_b64 exec, exec, s[0:1]
                                        ; implicit-def: $vgpr4_vgpr5
                                        ; implicit-def: $vgpr6_vgpr7
.LBB0_7:
	s_andn2_saveexec_b64 s[0:1], s[2:3]
	s_cbranch_execz .LBB0_9
; %bb.8:
	v_mov_b32_e32 v8, 1.0
	v_mov_b32_e32 v9, 0
	v_mov_b32_e32 v14, 0
	global_store_dword v[4:5], v8, off
	global_store_dword v[6:7], v9, off
.LBB0_9:
	s_or_b64 exec, exec, s[0:1]
	global_store_dword v[0:1], v9, off
	global_store_dword v[2:3], v14, off
.LBB0_10:
	s_endpgm
	.section	.rodata,"a",@progbits
	.p2align	6, 0x0
	.amdhsa_kernel _ZL19rocblas_rotg_kernelILi32EPfS0_EvT0_llS1_llT1_llS1_lli
		.amdhsa_group_segment_fixed_size 0
		.amdhsa_private_segment_fixed_size 0
		.amdhsa_kernarg_size 100
		.amdhsa_user_sgpr_count 6
		.amdhsa_user_sgpr_private_segment_buffer 1
		.amdhsa_user_sgpr_dispatch_ptr 0
		.amdhsa_user_sgpr_queue_ptr 0
		.amdhsa_user_sgpr_kernarg_segment_ptr 1
		.amdhsa_user_sgpr_dispatch_id 0
		.amdhsa_user_sgpr_flat_scratch_init 0
		.amdhsa_user_sgpr_private_segment_size 0
		.amdhsa_uses_dynamic_stack 0
		.amdhsa_system_sgpr_private_segment_wavefront_offset 0
		.amdhsa_system_sgpr_workgroup_id_x 1
		.amdhsa_system_sgpr_workgroup_id_y 0
		.amdhsa_system_sgpr_workgroup_id_z 0
		.amdhsa_system_sgpr_workgroup_info 0
		.amdhsa_system_vgpr_workitem_id 0
		.amdhsa_next_free_vgpr 22
		.amdhsa_next_free_sgpr 24
		.amdhsa_reserve_vcc 1
		.amdhsa_reserve_flat_scratch 0
		.amdhsa_float_round_mode_32 0
		.amdhsa_float_round_mode_16_64 0
		.amdhsa_float_denorm_mode_32 3
		.amdhsa_float_denorm_mode_16_64 3
		.amdhsa_dx10_clamp 1
		.amdhsa_ieee_mode 1
		.amdhsa_fp16_overflow 0
		.amdhsa_exception_fp_ieee_invalid_op 0
		.amdhsa_exception_fp_denorm_src 0
		.amdhsa_exception_fp_ieee_div_zero 0
		.amdhsa_exception_fp_ieee_overflow 0
		.amdhsa_exception_fp_ieee_underflow 0
		.amdhsa_exception_fp_ieee_inexact 0
		.amdhsa_exception_int_div_zero 0
	.end_amdhsa_kernel
	.section	.text._ZL19rocblas_rotg_kernelILi32EPfS0_EvT0_llS1_llT1_llS1_lli,"axG",@progbits,_ZL19rocblas_rotg_kernelILi32EPfS0_EvT0_llS1_llT1_llS1_lli,comdat
.Lfunc_end0:
	.size	_ZL19rocblas_rotg_kernelILi32EPfS0_EvT0_llS1_llT1_llS1_lli, .Lfunc_end0-_ZL19rocblas_rotg_kernelILi32EPfS0_EvT0_llS1_llT1_llS1_lli
                                        ; -- End function
	.set _ZL19rocblas_rotg_kernelILi32EPfS0_EvT0_llS1_llT1_llS1_lli.num_vgpr, 22
	.set _ZL19rocblas_rotg_kernelILi32EPfS0_EvT0_llS1_llT1_llS1_lli.num_agpr, 0
	.set _ZL19rocblas_rotg_kernelILi32EPfS0_EvT0_llS1_llT1_llS1_lli.numbered_sgpr, 24
	.set _ZL19rocblas_rotg_kernelILi32EPfS0_EvT0_llS1_llT1_llS1_lli.num_named_barrier, 0
	.set _ZL19rocblas_rotg_kernelILi32EPfS0_EvT0_llS1_llT1_llS1_lli.private_seg_size, 0
	.set _ZL19rocblas_rotg_kernelILi32EPfS0_EvT0_llS1_llT1_llS1_lli.uses_vcc, 1
	.set _ZL19rocblas_rotg_kernelILi32EPfS0_EvT0_llS1_llT1_llS1_lli.uses_flat_scratch, 0
	.set _ZL19rocblas_rotg_kernelILi32EPfS0_EvT0_llS1_llT1_llS1_lli.has_dyn_sized_stack, 0
	.set _ZL19rocblas_rotg_kernelILi32EPfS0_EvT0_llS1_llT1_llS1_lli.has_recursion, 0
	.set _ZL19rocblas_rotg_kernelILi32EPfS0_EvT0_llS1_llT1_llS1_lli.has_indirect_call, 0
	.section	.AMDGPU.csdata,"",@progbits
; Kernel info:
; codeLenInByte = 1060
; TotalNumSgprs: 28
; NumVgprs: 22
; ScratchSize: 0
; MemoryBound: 0
; FloatMode: 240
; IeeeMode: 1
; LDSByteSize: 0 bytes/workgroup (compile time only)
; SGPRBlocks: 3
; VGPRBlocks: 5
; NumSGPRsForWavesPerEU: 28
; NumVGPRsForWavesPerEU: 22
; Occupancy: 10
; WaveLimiterHint : 0
; COMPUTE_PGM_RSRC2:SCRATCH_EN: 0
; COMPUTE_PGM_RSRC2:USER_SGPR: 6
; COMPUTE_PGM_RSRC2:TRAP_HANDLER: 0
; COMPUTE_PGM_RSRC2:TGID_X_EN: 1
; COMPUTE_PGM_RSRC2:TGID_Y_EN: 0
; COMPUTE_PGM_RSRC2:TGID_Z_EN: 0
; COMPUTE_PGM_RSRC2:TIDIG_COMP_CNT: 0
	.section	.text._ZL19rocblas_rotg_kernelILi32EPdS0_EvT0_llS1_llT1_llS1_lli,"axG",@progbits,_ZL19rocblas_rotg_kernelILi32EPdS0_EvT0_llS1_llT1_llS1_lli,comdat
	.globl	_ZL19rocblas_rotg_kernelILi32EPdS0_EvT0_llS1_llT1_llS1_lli ; -- Begin function _ZL19rocblas_rotg_kernelILi32EPdS0_EvT0_llS1_llT1_llS1_lli
	.p2align	8
	.type	_ZL19rocblas_rotg_kernelILi32EPdS0_EvT0_llS1_llT1_llS1_lli,@function
_ZL19rocblas_rotg_kernelILi32EPdS0_EvT0_llS1_llT1_llS1_lli: ; @_ZL19rocblas_rotg_kernelILi32EPdS0_EvT0_llS1_llT1_llS1_lli
; %bb.0:
	s_load_dword s0, s[4:5], 0x60
	v_lshl_or_b32 v4, s6, 5, v0
	s_waitcnt lgkmcnt(0)
	v_cmp_gt_i32_e32 vcc, s0, v4
	s_and_saveexec_b64 s[0:1], vcc
	s_cbranch_execz .LBB1_10
; %bb.1:
	s_load_dwordx16 s[8:23], s[4:5], 0x0
	s_waitcnt lgkmcnt(0)
	v_mad_u64_u32 v[0:1], s[0:1], s12, v4, 0
	v_mad_u64_u32 v[2:3], s[0:1], s18, v4, 0
	v_mov_b32_e32 v7, s9
	v_mov_b32_e32 v20, s21
	v_mad_u64_u32 v[5:6], s[0:1], s13, v4, v[1:2]
	s_lshl_b64 s[0:1], s[10:11], 3
	v_mov_b32_e32 v8, s1
	v_mov_b32_e32 v1, v5
	v_lshlrev_b64 v[0:1], 3, v[0:1]
	v_mad_u64_u32 v[5:6], s[2:3], s19, v4, v[3:4]
	v_add_co_u32_e32 v0, vcc, s8, v0
	v_addc_co_u32_e32 v1, vcc, v7, v1, vcc
	v_add_co_u32_e32 v0, vcc, s0, v0
	v_addc_co_u32_e32 v1, vcc, v1, v8, vcc
	global_load_dwordx2 v[6:7], v[0:1], off
	v_mov_b32_e32 v3, v5
	v_lshlrev_b64 v[2:3], 3, v[2:3]
	v_mov_b32_e32 v5, s15
	v_add_co_u32_e32 v2, vcc, s14, v2
	v_addc_co_u32_e32 v3, vcc, v5, v3, vcc
	s_lshl_b64 s[0:1], s[16:17], 3
	v_mov_b32_e32 v5, s1
	v_add_co_u32_e32 v2, vcc, s0, v2
	v_addc_co_u32_e32 v3, vcc, v3, v5, vcc
	global_load_dwordx2 v[12:13], v[2:3], off
	s_load_dwordx8 s[8:15], s[4:5], 0x40
	s_waitcnt lgkmcnt(0)
	v_mad_u64_u32 v[8:9], s[0:1], s8, v4, 0
	v_mad_u64_u32 v[10:11], s[0:1], s14, v4, 0
	v_mov_b32_e32 v5, v9
	s_lshl_b64 s[0:1], s[22:23], 3
	v_mov_b32_e32 v9, v11
	v_mov_b32_e32 v22, s1
	;; [unrolled: 1-line block ×3, first 2 shown]
	s_waitcnt vmcnt(1)
	v_cmp_gt_f64_e32 vcc, 0, v[6:7]
	v_mad_u64_u32 v[14:15], s[2:3], s9, v4, v[5:6]
	v_mad_u64_u32 v[4:5], s[2:3], s15, v4, v[9:10]
	v_mov_b32_e32 v9, v14
	v_mov_b32_e32 v14, v6
	v_mov_b32_e32 v11, v4
	v_lshlrev_b64 v[4:5], 3, v[8:9]
	v_lshlrev_b64 v[8:9], 3, v[10:11]
	v_xor_b32_e32 v10, 0x80000000, v7
	v_cndmask_b32_e32 v15, v7, v10, vcc
	s_waitcnt vmcnt(0)
	v_cmp_gt_f64_e32 vcc, 0, v[12:13]
	v_xor_b32_e32 v11, 0x80000000, v13
	v_mov_b32_e32 v16, v12
	v_cndmask_b32_e32 v17, v13, v11, vcc
	v_add_f64 v[18:19], v[14:15], v[16:17]
	v_add_co_u32_e32 v4, vcc, s20, v4
	v_addc_co_u32_e32 v5, vcc, v20, v5, vcc
	v_add_co_u32_e32 v4, vcc, s0, v4
	v_addc_co_u32_e32 v5, vcc, v5, v22, vcc
	v_cmp_neq_f64_e32 vcc, 0, v[18:19]
	v_add_co_u32_e64 v8, s[0:1], s10, v8
	v_addc_co_u32_e64 v9, s[0:1], v21, v9, s[0:1]
	s_lshl_b64 s[0:1], s[12:13], 3
	v_mov_b32_e32 v10, s1
	v_add_co_u32_e64 v8, s[0:1], s0, v8
	v_addc_co_u32_e64 v9, s[0:1], v9, v10, s[0:1]
                                        ; implicit-def: $vgpr20_vgpr21
                                        ; implicit-def: $vgpr10_vgpr11
	s_and_saveexec_b64 s[0:1], vcc
	s_xor_b64 s[2:3], exec, s[0:1]
	s_cbranch_execz .LBB1_7
; %bb.2:
	v_div_scale_f64 v[10:11], s[0:1], v[18:19], v[18:19], v[6:7]
	v_div_scale_f64 v[24:25], vcc, v[6:7], v[18:19], v[6:7]
	v_rcp_f64_e32 v[20:21], v[10:11]
	v_fma_f64 v[22:23], -v[10:11], v[20:21], 1.0
	v_fma_f64 v[20:21], v[20:21], v[22:23], v[20:21]
	v_fma_f64 v[22:23], -v[10:11], v[20:21], 1.0
	v_fma_f64 v[20:21], v[20:21], v[22:23], v[20:21]
	v_div_scale_f64 v[22:23], s[0:1], v[18:19], v[18:19], v[12:13]
	s_mov_b32 s0, 0
	s_brev_b32 s1, 8
	v_mul_f64 v[26:27], v[24:25], v[20:21]
	v_fma_f64 v[10:11], -v[10:11], v[26:27], v[24:25]
	v_rcp_f64_e32 v[24:25], v[22:23]
	v_div_fmas_f64 v[10:11], v[10:11], v[20:21], v[26:27]
	v_div_scale_f64 v[20:21], vcc, v[12:13], v[18:19], v[12:13]
	v_fma_f64 v[28:29], -v[22:23], v[24:25], 1.0
	v_div_fixup_f64 v[10:11], v[10:11], v[18:19], v[6:7]
	v_fma_f64 v[24:25], v[24:25], v[28:29], v[24:25]
	v_fma_f64 v[26:27], -v[22:23], v[24:25], 1.0
	v_fma_f64 v[24:25], v[24:25], v[26:27], v[24:25]
	v_mul_f64 v[26:27], v[20:21], v[24:25]
	v_fma_f64 v[20:21], -v[22:23], v[26:27], v[20:21]
	v_div_fmas_f64 v[20:21], v[20:21], v[24:25], v[26:27]
	v_div_fixup_f64 v[20:21], v[20:21], v[18:19], v[12:13]
	v_mov_b32_e32 v12, 0x100
	v_mul_f64 v[20:21], v[20:21], v[20:21]
	v_fma_f64 v[10:11], v[10:11], v[10:11], v[20:21]
	v_cmp_gt_f64_e32 vcc, s[0:1], v[10:11]
	s_brev_b32 s0, -2
	v_cndmask_b32_e32 v12, 0, v12, vcc
	v_ldexp_f64 v[10:11], v[10:11], v12
	v_mov_b32_e32 v12, 0x260
	v_rsq_f64_e32 v[20:21], v[10:11]
	v_mul_f64 v[22:23], v[10:11], v[20:21]
	v_mul_f64 v[20:21], v[20:21], 0.5
	v_fma_f64 v[24:25], -v[20:21], v[22:23], 0.5
	v_fma_f64 v[22:23], v[22:23], v[24:25], v[22:23]
	v_fma_f64 v[20:21], v[20:21], v[24:25], v[20:21]
	v_fma_f64 v[24:25], -v[22:23], v[22:23], v[10:11]
	v_fma_f64 v[22:23], v[24:25], v[20:21], v[22:23]
	v_fma_f64 v[24:25], -v[22:23], v[22:23], v[10:11]
	v_fma_f64 v[20:21], v[24:25], v[20:21], v[22:23]
	v_mov_b32_e32 v22, 0xffffff80
	v_cndmask_b32_e32 v22, 0, v22, vcc
	v_cmp_class_f64_e32 vcc, v[10:11], v12
	v_ldexp_f64 v[20:21], v[20:21], v22
	v_cndmask_b32_e32 v11, v21, v11, vcc
	v_cndmask_b32_e32 v10, v20, v10, vcc
	v_cmp_gt_f64_e32 vcc, v[14:15], v[16:17]
	v_mul_f64 v[10:11], v[18:19], v[10:11]
	v_cndmask_b32_e32 v12, v13, v7, vcc
	v_bfi_b32 v11, s0, v11, v12
	v_div_scale_f64 v[12:13], s[0:1], v[10:11], v[10:11], v[6:7]
	v_rcp_f64_e32 v[14:15], v[12:13]
	v_fma_f64 v[16:17], -v[12:13], v[14:15], 1.0
	v_fma_f64 v[14:15], v[14:15], v[16:17], v[14:15]
	v_div_scale_f64 v[16:17], vcc, v[6:7], v[10:11], v[6:7]
	v_fma_f64 v[18:19], -v[12:13], v[14:15], 1.0
	v_fma_f64 v[14:15], v[14:15], v[18:19], v[14:15]
	v_mul_f64 v[18:19], v[16:17], v[14:15]
	v_fma_f64 v[12:13], -v[12:13], v[18:19], v[16:17]
	v_div_fmas_f64 v[12:13], v[12:13], v[14:15], v[18:19]
	v_div_fixup_f64 v[6:7], v[12:13], v[10:11], v[6:7]
	global_store_dwordx2 v[4:5], v[6:7], off
	global_load_dwordx2 v[6:7], v[2:3], off
	s_waitcnt vmcnt(0)
	v_div_scale_f64 v[12:13], s[0:1], v[10:11], v[10:11], v[6:7]
	v_rcp_f64_e32 v[14:15], v[12:13]
	v_fma_f64 v[16:17], -v[12:13], v[14:15], 1.0
	v_fma_f64 v[14:15], v[14:15], v[16:17], v[14:15]
	v_div_scale_f64 v[16:17], vcc, v[6:7], v[10:11], v[6:7]
	v_fma_f64 v[18:19], -v[12:13], v[14:15], 1.0
	v_fma_f64 v[14:15], v[14:15], v[18:19], v[14:15]
	v_mul_f64 v[18:19], v[16:17], v[14:15]
	v_fma_f64 v[12:13], -v[12:13], v[18:19], v[16:17]
	v_div_fmas_f64 v[12:13], v[12:13], v[14:15], v[18:19]
	v_div_fixup_f64 v[6:7], v[12:13], v[10:11], v[6:7]
	global_store_dwordx2 v[8:9], v[6:7], off
	global_load_dwordx2 v[8:9], v[0:1], off
	s_nop 0
	global_load_dwordx2 v[12:13], v[2:3], off
	s_waitcnt vmcnt(1)
	v_cmp_gt_f64_e32 vcc, 0, v[8:9]
	v_xor_b32_e32 v14, 0x80000000, v9
	s_waitcnt vmcnt(0)
	v_xor_b32_e32 v15, 0x80000000, v13
	v_cndmask_b32_e32 v9, v9, v14, vcc
	v_cmp_gt_f64_e32 vcc, 0, v[12:13]
	v_mov_b32_e32 v14, 0x3ff00000
	v_cndmask_b32_e32 v13, v13, v15, vcc
	v_cmp_gt_f64_e32 vcc, v[8:9], v[12:13]
	v_cmp_ge_f64_e64 s[0:1], v[12:13], v[8:9]
	v_cndmask_b32_e32 v21, v14, v7, vcc
	v_cndmask_b32_e32 v20, 0, v6, vcc
	s_and_saveexec_b64 s[4:5], s[0:1]
	s_cbranch_execz .LBB1_6
; %bb.3:
	global_load_dwordx2 v[4:5], v[4:5], off
	s_waitcnt vmcnt(0)
	v_cmp_neq_f64_e32 vcc, 0, v[4:5]
	s_and_saveexec_b64 s[0:1], vcc
	s_cbranch_execz .LBB1_5
; %bb.4:
	v_div_scale_f64 v[6:7], s[6:7], v[4:5], v[4:5], 1.0
	v_div_scale_f64 v[14:15], vcc, 1.0, v[4:5], 1.0
	v_rcp_f64_e32 v[8:9], v[6:7]
	v_fma_f64 v[12:13], -v[6:7], v[8:9], 1.0
	v_fma_f64 v[8:9], v[8:9], v[12:13], v[8:9]
	v_fma_f64 v[12:13], -v[6:7], v[8:9], 1.0
	v_fma_f64 v[8:9], v[8:9], v[12:13], v[8:9]
	v_mul_f64 v[12:13], v[14:15], v[8:9]
	v_fma_f64 v[6:7], -v[6:7], v[12:13], v[14:15]
	v_div_fmas_f64 v[6:7], v[6:7], v[8:9], v[12:13]
	v_div_fixup_f64 v[20:21], v[6:7], v[4:5], 1.0
.LBB1_5:
	s_or_b64 exec, exec, s[0:1]
.LBB1_6:
	s_or_b64 exec, exec, s[4:5]
                                        ; implicit-def: $vgpr4_vgpr5
                                        ; implicit-def: $vgpr8_vgpr9
.LBB1_7:
	s_andn2_saveexec_b64 s[0:1], s[2:3]
	s_cbranch_execz .LBB1_9
; %bb.8:
	v_mov_b32_e32 v6, 0
	v_mov_b32_e32 v7, 0x3ff00000
	;; [unrolled: 1-line block ×4, first 2 shown]
	global_store_dwordx2 v[4:5], v[6:7], off
	v_mov_b32_e32 v7, v6
	v_mov_b32_e32 v11, 0
	;; [unrolled: 1-line block ×3, first 2 shown]
	global_store_dwordx2 v[8:9], v[6:7], off
.LBB1_9:
	s_or_b64 exec, exec, s[0:1]
	global_store_dwordx2 v[0:1], v[10:11], off
	global_store_dwordx2 v[2:3], v[20:21], off
.LBB1_10:
	s_endpgm
	.section	.rodata,"a",@progbits
	.p2align	6, 0x0
	.amdhsa_kernel _ZL19rocblas_rotg_kernelILi32EPdS0_EvT0_llS1_llT1_llS1_lli
		.amdhsa_group_segment_fixed_size 0
		.amdhsa_private_segment_fixed_size 0
		.amdhsa_kernarg_size 100
		.amdhsa_user_sgpr_count 6
		.amdhsa_user_sgpr_private_segment_buffer 1
		.amdhsa_user_sgpr_dispatch_ptr 0
		.amdhsa_user_sgpr_queue_ptr 0
		.amdhsa_user_sgpr_kernarg_segment_ptr 1
		.amdhsa_user_sgpr_dispatch_id 0
		.amdhsa_user_sgpr_flat_scratch_init 0
		.amdhsa_user_sgpr_private_segment_size 0
		.amdhsa_uses_dynamic_stack 0
		.amdhsa_system_sgpr_private_segment_wavefront_offset 0
		.amdhsa_system_sgpr_workgroup_id_x 1
		.amdhsa_system_sgpr_workgroup_id_y 0
		.amdhsa_system_sgpr_workgroup_id_z 0
		.amdhsa_system_sgpr_workgroup_info 0
		.amdhsa_system_vgpr_workitem_id 0
		.amdhsa_next_free_vgpr 30
		.amdhsa_next_free_sgpr 24
		.amdhsa_reserve_vcc 1
		.amdhsa_reserve_flat_scratch 0
		.amdhsa_float_round_mode_32 0
		.amdhsa_float_round_mode_16_64 0
		.amdhsa_float_denorm_mode_32 3
		.amdhsa_float_denorm_mode_16_64 3
		.amdhsa_dx10_clamp 1
		.amdhsa_ieee_mode 1
		.amdhsa_fp16_overflow 0
		.amdhsa_exception_fp_ieee_invalid_op 0
		.amdhsa_exception_fp_denorm_src 0
		.amdhsa_exception_fp_ieee_div_zero 0
		.amdhsa_exception_fp_ieee_overflow 0
		.amdhsa_exception_fp_ieee_underflow 0
		.amdhsa_exception_fp_ieee_inexact 0
		.amdhsa_exception_int_div_zero 0
	.end_amdhsa_kernel
	.section	.text._ZL19rocblas_rotg_kernelILi32EPdS0_EvT0_llS1_llT1_llS1_lli,"axG",@progbits,_ZL19rocblas_rotg_kernelILi32EPdS0_EvT0_llS1_llT1_llS1_lli,comdat
.Lfunc_end1:
	.size	_ZL19rocblas_rotg_kernelILi32EPdS0_EvT0_llS1_llT1_llS1_lli, .Lfunc_end1-_ZL19rocblas_rotg_kernelILi32EPdS0_EvT0_llS1_llT1_llS1_lli
                                        ; -- End function
	.set _ZL19rocblas_rotg_kernelILi32EPdS0_EvT0_llS1_llT1_llS1_lli.num_vgpr, 30
	.set _ZL19rocblas_rotg_kernelILi32EPdS0_EvT0_llS1_llT1_llS1_lli.num_agpr, 0
	.set _ZL19rocblas_rotg_kernelILi32EPdS0_EvT0_llS1_llT1_llS1_lli.numbered_sgpr, 24
	.set _ZL19rocblas_rotg_kernelILi32EPdS0_EvT0_llS1_llT1_llS1_lli.num_named_barrier, 0
	.set _ZL19rocblas_rotg_kernelILi32EPdS0_EvT0_llS1_llT1_llS1_lli.private_seg_size, 0
	.set _ZL19rocblas_rotg_kernelILi32EPdS0_EvT0_llS1_llT1_llS1_lli.uses_vcc, 1
	.set _ZL19rocblas_rotg_kernelILi32EPdS0_EvT0_llS1_llT1_llS1_lli.uses_flat_scratch, 0
	.set _ZL19rocblas_rotg_kernelILi32EPdS0_EvT0_llS1_llT1_llS1_lli.has_dyn_sized_stack, 0
	.set _ZL19rocblas_rotg_kernelILi32EPdS0_EvT0_llS1_llT1_llS1_lli.has_recursion, 0
	.set _ZL19rocblas_rotg_kernelILi32EPdS0_EvT0_llS1_llT1_llS1_lli.has_indirect_call, 0
	.section	.AMDGPU.csdata,"",@progbits
; Kernel info:
; codeLenInByte = 1240
; TotalNumSgprs: 28
; NumVgprs: 30
; ScratchSize: 0
; MemoryBound: 0
; FloatMode: 240
; IeeeMode: 1
; LDSByteSize: 0 bytes/workgroup (compile time only)
; SGPRBlocks: 3
; VGPRBlocks: 7
; NumSGPRsForWavesPerEU: 28
; NumVGPRsForWavesPerEU: 30
; Occupancy: 8
; WaveLimiterHint : 0
; COMPUTE_PGM_RSRC2:SCRATCH_EN: 0
; COMPUTE_PGM_RSRC2:USER_SGPR: 6
; COMPUTE_PGM_RSRC2:TRAP_HANDLER: 0
; COMPUTE_PGM_RSRC2:TGID_X_EN: 1
; COMPUTE_PGM_RSRC2:TGID_Y_EN: 0
; COMPUTE_PGM_RSRC2:TGID_Z_EN: 0
; COMPUTE_PGM_RSRC2:TIDIG_COMP_CNT: 0
	.section	.text._ZL19rocblas_rotg_kernelILi32EP19rocblas_complex_numIfEPfEvT0_llS4_llT1_llS4_lli,"axG",@progbits,_ZL19rocblas_rotg_kernelILi32EP19rocblas_complex_numIfEPfEvT0_llS4_llT1_llS4_lli,comdat
	.globl	_ZL19rocblas_rotg_kernelILi32EP19rocblas_complex_numIfEPfEvT0_llS4_llT1_llS4_lli ; -- Begin function _ZL19rocblas_rotg_kernelILi32EP19rocblas_complex_numIfEPfEvT0_llS4_llT1_llS4_lli
	.p2align	8
	.type	_ZL19rocblas_rotg_kernelILi32EP19rocblas_complex_numIfEPfEvT0_llS4_llT1_llS4_lli,@function
_ZL19rocblas_rotg_kernelILi32EP19rocblas_complex_numIfEPfEvT0_llS4_llT1_llS4_lli: ; @_ZL19rocblas_rotg_kernelILi32EP19rocblas_complex_numIfEPfEvT0_llS4_llT1_llS4_lli
; %bb.0:
	s_load_dword s0, s[4:5], 0x60
	v_lshl_or_b32 v2, s6, 5, v0
	s_waitcnt lgkmcnt(0)
	v_cmp_gt_i32_e32 vcc, s0, v2
	s_and_saveexec_b64 s[0:1], vcc
	s_cbranch_execz .LBB2_63
; %bb.1:
	s_load_dwordx16 s[8:23], s[4:5], 0x0
	v_mov_b32_e32 v10, 0
	s_waitcnt lgkmcnt(0)
	v_mad_u64_u32 v[0:1], s[0:1], s12, v2, 0
	v_mad_u64_u32 v[3:4], s[0:1], s13, v2, v[1:2]
	v_mov_b32_e32 v4, s9
	s_lshl_b64 s[0:1], s[10:11], 3
	v_mov_b32_e32 v1, v3
	v_lshlrev_b64 v[0:1], 3, v[0:1]
	v_mov_b32_e32 v5, s1
	v_add_co_u32_e32 v0, vcc, s8, v0
	v_addc_co_u32_e32 v1, vcc, v4, v1, vcc
	v_add_co_u32_e32 v0, vcc, s0, v0
	v_addc_co_u32_e32 v1, vcc, v1, v5, vcc
	global_load_dwordx2 v[6:7], v[0:1], off
	s_waitcnt vmcnt(0)
	v_cmp_gt_f32_e32 vcc, 0, v6
	v_cndmask_b32_e64 v6, v6, -v6, vcc
	v_cmp_gt_f32_e32 vcc, 0, v7
	v_cndmask_b32_e64 v14, v7, -v7, vcc
	v_cmp_ngt_f32_e64 s[0:1], v6, v14
	s_and_saveexec_b64 s[2:3], s[0:1]
	s_xor_b64 s[6:7], exec, s[2:3]
	s_cbranch_execz .LBB2_5
; %bb.2:
	v_cmp_neq_f32_e32 vcc, 0, v7
	s_and_saveexec_b64 s[8:9], vcc
	s_cbranch_execz .LBB2_4
; %bb.3:
	v_div_scale_f32 v3, s[2:3], v14, v14, v6
	v_div_scale_f32 v4, vcc, v6, v14, v6
	s_mov_b32 s2, 0xf800000
	v_rcp_f32_e32 v5, v3
	v_fma_f32 v8, -v3, v5, 1.0
	v_fmac_f32_e32 v5, v8, v5
	v_mul_f32_e32 v8, v4, v5
	v_fma_f32 v9, -v3, v8, v4
	v_fmac_f32_e32 v8, v9, v5
	v_fma_f32 v3, -v3, v8, v4
	v_div_fmas_f32 v3, v3, v5, v8
	v_mov_b32_e32 v5, 0x260
	v_div_fixup_f32 v3, v3, v14, v6
	v_fma_f32 v3, v3, v3, 1.0
	v_mul_f32_e32 v4, 0x4f800000, v3
	v_cmp_gt_f32_e32 vcc, s2, v3
	v_cndmask_b32_e32 v3, v3, v4, vcc
	v_sqrt_f32_e32 v4, v3
	v_add_u32_e32 v8, -1, v4
	v_add_u32_e32 v9, 1, v4
	v_fma_f32 v10, -v8, v4, v3
	v_fma_f32 v11, -v9, v4, v3
	v_cmp_ge_f32_e64 s[2:3], 0, v10
	v_cndmask_b32_e64 v4, v4, v8, s[2:3]
	v_cmp_lt_f32_e64 s[2:3], 0, v11
	v_cndmask_b32_e64 v4, v4, v9, s[2:3]
	v_mul_f32_e32 v8, 0x37800000, v4
	v_cndmask_b32_e32 v4, v4, v8, vcc
	v_cmp_class_f32_e32 vcc, v3, v5
	v_cndmask_b32_e32 v3, v4, v3, vcc
	v_mul_f32_e32 v10, v14, v3
.LBB2_4:
	s_or_b64 exec, exec, s[8:9]
.LBB2_5:
	s_andn2_saveexec_b64 s[6:7], s[6:7]
	s_cbranch_execz .LBB2_7
; %bb.6:
	v_div_scale_f32 v3, s[2:3], v6, v6, v14
	v_div_scale_f32 v4, vcc, v14, v6, v14
	s_mov_b32 s2, 0xf800000
	v_rcp_f32_e32 v5, v3
	v_fma_f32 v8, -v3, v5, 1.0
	v_fmac_f32_e32 v5, v8, v5
	v_mul_f32_e32 v8, v4, v5
	v_fma_f32 v9, -v3, v8, v4
	v_fmac_f32_e32 v8, v9, v5
	v_fma_f32 v3, -v3, v8, v4
	v_div_fmas_f32 v3, v3, v5, v8
	v_mov_b32_e32 v5, 0x260
	v_div_fixup_f32 v3, v3, v6, v14
	v_fma_f32 v3, v3, v3, 1.0
	v_mul_f32_e32 v4, 0x4f800000, v3
	v_cmp_gt_f32_e32 vcc, s2, v3
	v_cndmask_b32_e32 v3, v3, v4, vcc
	v_sqrt_f32_e32 v4, v3
	v_add_u32_e32 v8, -1, v4
	v_add_u32_e32 v9, 1, v4
	v_fma_f32 v10, -v8, v4, v3
	v_fma_f32 v11, -v9, v4, v3
	v_cmp_ge_f32_e64 s[2:3], 0, v10
	v_cndmask_b32_e64 v4, v4, v8, s[2:3]
	v_cmp_lt_f32_e64 s[2:3], 0, v11
	v_cndmask_b32_e64 v4, v4, v9, s[2:3]
	v_mul_f32_e32 v8, 0x37800000, v4
	v_cndmask_b32_e32 v4, v4, v8, vcc
	v_cmp_class_f32_e32 vcc, v3, v5
	v_cndmask_b32_e32 v3, v4, v3, vcc
	v_mul_f32_e32 v10, v6, v3
.LBB2_7:
	s_or_b64 exec, exec, s[6:7]
	v_mad_u64_u32 v[3:4], s[2:3], s18, v2, 0
	s_load_dwordx8 s[24:31], s[4:5], 0x40
	v_mad_u64_u32 v[4:5], s[2:3], s19, v2, v[4:5]
	v_mov_b32_e32 v5, s15
	s_waitcnt lgkmcnt(0)
	v_mad_u64_u32 v[8:9], s[2:3], s24, v2, 0
	v_lshlrev_b64 v[3:4], 3, v[3:4]
	s_lshl_b64 s[2:3], s[16:17], 3
	v_add_co_u32_e32 v11, vcc, s14, v3
	v_mov_b32_e32 v3, v9
	v_addc_co_u32_e32 v5, vcc, v5, v4, vcc
	v_mad_u64_u32 v[3:4], s[4:5], s25, v2, v[3:4]
	v_mov_b32_e32 v12, s3
	v_add_co_u32_e32 v4, vcc, s2, v11
	v_addc_co_u32_e32 v5, vcc, v5, v12, vcc
	v_mov_b32_e32 v9, v3
	v_mad_u64_u32 v[11:12], s[2:3], s30, v2, 0
	v_lshlrev_b64 v[8:9], 2, v[8:9]
	v_mov_b32_e32 v3, s21
	v_add_co_u32_e32 v8, vcc, s20, v8
	v_addc_co_u32_e32 v9, vcc, v3, v9, vcc
	v_mov_b32_e32 v3, v12
	v_mad_u64_u32 v[2:3], s[4:5], s31, v2, v[3:4]
	s_lshl_b64 s[2:3], s[22:23], 2
	v_mov_b32_e32 v13, s3
	v_mov_b32_e32 v12, v2
	v_add_co_u32_e32 v8, vcc, s2, v8
	v_lshlrev_b64 v[2:3], 3, v[11:12]
	v_addc_co_u32_e32 v9, vcc, v9, v13, vcc
	v_mov_b32_e32 v11, s27
	v_add_co_u32_e32 v2, vcc, s26, v2
	v_addc_co_u32_e32 v3, vcc, v11, v3, vcc
	s_lshl_b64 s[2:3], s[28:29], 3
	v_mov_b32_e32 v11, s3
	v_add_co_u32_e32 v2, vcc, s2, v2
	v_addc_co_u32_e32 v3, vcc, v3, v11, vcc
	v_cmp_eq_f32_e32 vcc, 0, v10
	s_and_saveexec_b64 s[2:3], vcc
	s_xor_b64 s[2:3], exec, s[2:3]
	s_cbranch_execz .LBB2_9
; %bb.8:
	v_mov_b32_e32 v7, 0
	v_mov_b32_e32 v6, 1.0
	global_store_dword v[8:9], v7, off
	global_store_dwordx2 v[2:3], v[6:7], off
	global_load_dwordx2 v[2:3], v[4:5], off
                                        ; implicit-def: $vgpr6_vgpr7
                                        ; implicit-def: $vgpr8_vgpr9
                                        ; implicit-def: $vgpr4_vgpr5
                                        ; implicit-def: $vgpr14
                                        ; implicit-def: $vgpr6
	s_waitcnt vmcnt(0)
	global_store_dwordx2 v[0:1], v[2:3], off
                                        ; implicit-def: $vgpr2_vgpr3
                                        ; implicit-def: $vgpr0_vgpr1
.LBB2_9:
	s_andn2_saveexec_b64 s[2:3], s[2:3]
	s_cbranch_execz .LBB2_63
; %bb.10:
                                        ; implicit-def: $vgpr12
	s_and_saveexec_b64 s[2:3], s[0:1]
	s_xor_b64 s[2:3], exec, s[2:3]
	s_cbranch_execz .LBB2_14
; %bb.11:
	v_mov_b32_e32 v12, 0
	v_cmp_neq_f32_e32 vcc, 0, v7
	s_and_saveexec_b64 s[4:5], vcc
	s_cbranch_execz .LBB2_13
; %bb.12:
	v_div_scale_f32 v10, s[0:1], v14, v14, v6
	v_div_scale_f32 v11, vcc, v6, v14, v6
	s_mov_b32 s0, 0xf800000
	v_rcp_f32_e32 v12, v10
	v_fma_f32 v13, -v10, v12, 1.0
	v_fmac_f32_e32 v12, v13, v12
	v_mul_f32_e32 v13, v11, v12
	v_fma_f32 v15, -v10, v13, v11
	v_fmac_f32_e32 v13, v15, v12
	v_fma_f32 v10, -v10, v13, v11
	v_div_fmas_f32 v10, v10, v12, v13
	v_mov_b32_e32 v11, 0x260
	v_div_fixup_f32 v6, v10, v14, v6
	v_fma_f32 v6, v6, v6, 1.0
	v_mul_f32_e32 v10, 0x4f800000, v6
	v_cmp_gt_f32_e32 vcc, s0, v6
	v_cndmask_b32_e32 v6, v6, v10, vcc
	v_sqrt_f32_e32 v10, v6
	v_add_u32_e32 v12, -1, v10
	v_add_u32_e32 v13, 1, v10
	v_fma_f32 v15, -v12, v10, v6
	v_fma_f32 v16, -v13, v10, v6
	v_cmp_ge_f32_e64 s[0:1], 0, v15
	v_cndmask_b32_e64 v10, v10, v12, s[0:1]
	v_cmp_lt_f32_e64 s[0:1], 0, v16
	v_cndmask_b32_e64 v10, v10, v13, s[0:1]
	v_mul_f32_e32 v12, 0x37800000, v10
	v_cndmask_b32_e32 v10, v10, v12, vcc
	v_cmp_class_f32_e32 vcc, v6, v11
	v_cndmask_b32_e32 v6, v10, v6, vcc
	v_mul_f32_e32 v12, v14, v6
.LBB2_13:
	s_or_b64 exec, exec, s[4:5]
                                        ; implicit-def: $vgpr6
.LBB2_14:
	s_andn2_saveexec_b64 s[2:3], s[2:3]
	s_cbranch_execz .LBB2_16
; %bb.15:
	v_div_scale_f32 v10, s[0:1], v6, v6, v14
	v_div_scale_f32 v11, vcc, v14, v6, v14
	s_mov_b32 s0, 0xf800000
	v_rcp_f32_e32 v12, v10
	v_fma_f32 v13, -v10, v12, 1.0
	v_fmac_f32_e32 v12, v13, v12
	v_mul_f32_e32 v13, v11, v12
	v_fma_f32 v15, -v10, v13, v11
	v_fmac_f32_e32 v13, v15, v12
	v_fma_f32 v10, -v10, v13, v11
	v_div_fmas_f32 v10, v10, v12, v13
	v_mov_b32_e32 v12, 0x260
	v_div_fixup_f32 v10, v10, v6, v14
	v_fma_f32 v10, v10, v10, 1.0
	v_mul_f32_e32 v11, 0x4f800000, v10
	v_cmp_gt_f32_e32 vcc, s0, v10
	v_cndmask_b32_e32 v10, v10, v11, vcc
	v_sqrt_f32_e32 v11, v10
	v_add_u32_e32 v13, -1, v11
	v_add_u32_e32 v15, 1, v11
	v_fma_f32 v16, -v13, v11, v10
	v_fma_f32 v17, -v15, v11, v10
	v_cmp_ge_f32_e64 s[0:1], 0, v16
	v_cndmask_b32_e64 v11, v11, v13, s[0:1]
	v_cmp_lt_f32_e64 s[0:1], 0, v17
	v_cndmask_b32_e64 v11, v11, v15, s[0:1]
	v_mul_f32_e32 v13, 0x37800000, v11
	v_cndmask_b32_e32 v11, v11, v13, vcc
	v_cmp_class_f32_e32 vcc, v10, v12
	v_cndmask_b32_e32 v10, v11, v10, vcc
	v_mul_f32_e32 v12, v6, v10
.LBB2_16:
	s_or_b64 exec, exec, s[2:3]
	global_load_dwordx2 v[10:11], v[4:5], off
                                        ; implicit-def: $vgpr13
	s_waitcnt vmcnt(0)
	v_cmp_gt_f32_e32 vcc, 0, v10
	v_cndmask_b32_e64 v6, v10, -v10, vcc
	v_cmp_gt_f32_e32 vcc, 0, v11
	v_cndmask_b32_e64 v10, v11, -v11, vcc
	v_cmp_ngt_f32_e32 vcc, v6, v10
	s_and_saveexec_b64 s[0:1], vcc
	s_xor_b64 s[2:3], exec, s[0:1]
	s_cbranch_execz .LBB2_20
; %bb.17:
	v_mov_b32_e32 v13, 0
	v_cmp_neq_f32_e32 vcc, 0, v11
	s_and_saveexec_b64 s[4:5], vcc
	s_cbranch_execz .LBB2_19
; %bb.18:
	v_div_scale_f32 v11, s[0:1], v10, v10, v6
	v_div_scale_f32 v13, vcc, v6, v10, v6
	s_mov_b32 s0, 0xf800000
	v_rcp_f32_e32 v15, v11
	v_fma_f32 v16, -v11, v15, 1.0
	v_fmac_f32_e32 v15, v16, v15
	v_mul_f32_e32 v16, v13, v15
	v_fma_f32 v17, -v11, v16, v13
	v_fmac_f32_e32 v16, v17, v15
	v_fma_f32 v11, -v11, v16, v13
	v_div_fmas_f32 v11, v11, v15, v16
	v_mov_b32_e32 v13, 0x260
	v_div_fixup_f32 v6, v11, v10, v6
	v_fma_f32 v6, v6, v6, 1.0
	v_mul_f32_e32 v11, 0x4f800000, v6
	v_cmp_gt_f32_e32 vcc, s0, v6
	v_cndmask_b32_e32 v6, v6, v11, vcc
	v_sqrt_f32_e32 v11, v6
	v_add_u32_e32 v15, -1, v11
	v_add_u32_e32 v16, 1, v11
	v_fma_f32 v17, -v15, v11, v6
	v_fma_f32 v18, -v16, v11, v6
	v_cmp_ge_f32_e64 s[0:1], 0, v17
	v_cndmask_b32_e64 v11, v11, v15, s[0:1]
	v_cmp_lt_f32_e64 s[0:1], 0, v18
	v_cndmask_b32_e64 v11, v11, v16, s[0:1]
	v_mul_f32_e32 v15, 0x37800000, v11
	v_cndmask_b32_e32 v11, v11, v15, vcc
	v_cmp_class_f32_e32 vcc, v6, v13
	v_cndmask_b32_e32 v6, v11, v6, vcc
	v_mul_f32_e32 v13, v10, v6
.LBB2_19:
	s_or_b64 exec, exec, s[4:5]
                                        ; implicit-def: $vgpr6
                                        ; implicit-def: $vgpr10
.LBB2_20:
	s_andn2_saveexec_b64 s[2:3], s[2:3]
	s_cbranch_execz .LBB2_22
; %bb.21:
	v_div_scale_f32 v11, s[0:1], v6, v6, v10
	v_div_scale_f32 v13, vcc, v10, v6, v10
	s_mov_b32 s0, 0xf800000
	v_rcp_f32_e32 v15, v11
	v_fma_f32 v16, -v11, v15, 1.0
	v_fmac_f32_e32 v15, v16, v15
	v_mul_f32_e32 v16, v13, v15
	v_fma_f32 v17, -v11, v16, v13
	v_fmac_f32_e32 v16, v17, v15
	v_fma_f32 v11, -v11, v16, v13
	v_div_fmas_f32 v11, v11, v15, v16
	v_mov_b32_e32 v13, 0x260
	v_div_fixup_f32 v10, v11, v6, v10
	v_fma_f32 v10, v10, v10, 1.0
	v_mul_f32_e32 v11, 0x4f800000, v10
	v_cmp_gt_f32_e32 vcc, s0, v10
	v_cndmask_b32_e32 v10, v10, v11, vcc
	v_sqrt_f32_e32 v11, v10
	v_add_u32_e32 v15, -1, v11
	v_add_u32_e32 v16, 1, v11
	v_fma_f32 v17, -v15, v11, v10
	v_fma_f32 v18, -v16, v11, v10
	v_cmp_ge_f32_e64 s[0:1], 0, v17
	v_cndmask_b32_e64 v11, v11, v15, s[0:1]
	v_cmp_lt_f32_e64 s[0:1], 0, v18
	v_cndmask_b32_e64 v11, v11, v16, s[0:1]
	v_mul_f32_e32 v15, 0x37800000, v11
	v_cndmask_b32_e32 v11, v11, v15, vcc
	v_cmp_class_f32_e32 vcc, v10, v13
	v_cndmask_b32_e32 v10, v11, v10, vcc
	v_mul_f32_e32 v13, v6, v10
.LBB2_22:
	s_or_b64 exec, exec, s[2:3]
	global_load_dwordx2 v[10:11], v[0:1], off
	v_add_f32_e32 v6, v12, v13
	v_cmp_nlg_f32_e64 s[0:1], 0, v6
                                        ; implicit-def: $vgpr12
                                        ; implicit-def: $vgpr16
	s_and_saveexec_b64 s[2:3], s[0:1]
	s_xor_b64 s[2:3], exec, s[2:3]
	s_cbranch_execz .LBB2_24
; %bb.23:
	v_div_scale_f32 v12, s[4:5], 0, 0, v6
	v_div_scale_f32 v13, vcc, v6, 0, v6
	v_rcp_f32_e32 v15, v12
	v_fma_f32 v16, -v12, v15, 1.0
	v_fmac_f32_e32 v15, v16, v15
	v_mul_f32_e32 v16, v13, v15
	v_fma_f32 v17, -v12, v16, v13
	v_fmac_f32_e32 v16, v17, v15
	v_fma_f32 v12, -v12, v16, v13
	v_div_fmas_f32 v12, v12, v15, v16
	v_div_fixup_f32 v12, v12, 0, v6
	v_fma_f32 v13, v6, v12, 0
	v_div_scale_f32 v15, s[4:5], v13, v13, 1.0
	v_div_scale_f32 v16, vcc, 1.0, v13, 1.0
	v_rcp_f32_e32 v17, v15
	v_fma_f32 v18, -v15, v17, 1.0
	v_fmac_f32_e32 v17, v18, v17
	v_mul_f32_e32 v18, v16, v17
	v_fma_f32 v19, -v15, v18, v16
	v_fmac_f32_e32 v18, v19, v17
	v_fma_f32 v15, -v15, v18, v16
	v_div_fmas_f32 v15, v15, v17, v18
	s_waitcnt vmcnt(0)
	v_fma_f32 v16, v12, v10, v11
	v_fma_f32 v17, v12, v11, -v10
	v_div_fixup_f32 v13, v15, v13, 1.0
	v_mul_f32_e32 v12, v16, v13
	v_mul_f32_e32 v16, v13, v17
.LBB2_24:
	s_andn2_saveexec_b64 s[2:3], s[2:3]
	s_cbranch_execz .LBB2_26
; %bb.25:
	v_div_scale_f32 v12, s[4:5], v6, v6, 0
	v_div_scale_f32 v13, vcc, 0, v6, 0
	v_rcp_f32_e32 v15, v12
	v_fma_f32 v16, -v12, v15, 1.0
	v_fmac_f32_e32 v15, v16, v15
	v_mul_f32_e32 v16, v13, v15
	v_fma_f32 v17, -v12, v16, v13
	v_fmac_f32_e32 v16, v17, v15
	v_fma_f32 v12, -v12, v16, v13
	v_div_fmas_f32 v12, v12, v15, v16
	v_div_fixup_f32 v12, v12, v6, 0
	v_fma_f32 v13, 0, v12, v6
	v_div_scale_f32 v15, s[4:5], v13, v13, 1.0
	v_div_scale_f32 v16, vcc, 1.0, v13, 1.0
	v_rcp_f32_e32 v17, v15
	v_fma_f32 v18, -v15, v17, 1.0
	v_fmac_f32_e32 v17, v18, v17
	v_mul_f32_e32 v18, v16, v17
	v_fma_f32 v19, -v15, v18, v16
	v_fmac_f32_e32 v18, v19, v17
	v_fma_f32 v15, -v15, v18, v16
	v_div_fmas_f32 v15, v15, v17, v18
	s_waitcnt vmcnt(0)
	v_fma_f32 v16, v12, v11, v10
	v_fma_f32 v17, -v12, v10, v11
	v_div_fixup_f32 v13, v15, v13, 1.0
	v_mul_f32_e32 v12, v13, v16
	v_mul_f32_e32 v16, v17, v13
.LBB2_26:
	s_or_b64 exec, exec, s[2:3]
	v_cmp_gt_f32_e32 vcc, 0, v12
	v_cndmask_b32_e64 v12, v12, -v12, vcc
	v_cmp_gt_f32_e32 vcc, 0, v16
	v_cndmask_b32_e64 v13, v16, -v16, vcc
	v_cmp_ngt_f32_e32 vcc, v12, v13
                                        ; implicit-def: $vgpr15
	s_and_saveexec_b64 s[2:3], vcc
	s_xor_b64 s[4:5], exec, s[2:3]
	s_cbranch_execz .LBB2_30
; %bb.27:
	v_mov_b32_e32 v15, 0
	v_cmp_neq_f32_e32 vcc, 0, v16
	s_and_saveexec_b64 s[6:7], vcc
	s_cbranch_execz .LBB2_29
; %bb.28:
	v_div_scale_f32 v15, s[2:3], v13, v13, v12
	v_div_scale_f32 v16, vcc, v12, v13, v12
	s_mov_b32 s2, 0xf800000
	v_rcp_f32_e32 v17, v15
	v_fma_f32 v18, -v15, v17, 1.0
	v_fmac_f32_e32 v17, v18, v17
	v_mul_f32_e32 v18, v16, v17
	v_fma_f32 v19, -v15, v18, v16
	v_fmac_f32_e32 v18, v19, v17
	v_fma_f32 v15, -v15, v18, v16
	v_div_fmas_f32 v15, v15, v17, v18
	v_mov_b32_e32 v16, 0x260
	v_div_fixup_f32 v12, v15, v13, v12
	v_fma_f32 v12, v12, v12, 1.0
	v_mul_f32_e32 v15, 0x4f800000, v12
	v_cmp_gt_f32_e32 vcc, s2, v12
	v_cndmask_b32_e32 v12, v12, v15, vcc
	v_sqrt_f32_e32 v15, v12
	v_add_u32_e32 v17, -1, v15
	v_add_u32_e32 v18, 1, v15
	v_fma_f32 v19, -v17, v15, v12
	v_fma_f32 v20, -v18, v15, v12
	v_cmp_ge_f32_e64 s[2:3], 0, v19
	v_cndmask_b32_e64 v15, v15, v17, s[2:3]
	v_cmp_lt_f32_e64 s[2:3], 0, v20
	v_cndmask_b32_e64 v15, v15, v18, s[2:3]
	v_mul_f32_e32 v17, 0x37800000, v15
	v_cndmask_b32_e32 v15, v15, v17, vcc
	v_cmp_class_f32_e32 vcc, v12, v16
	v_cndmask_b32_e32 v12, v15, v12, vcc
	v_mul_f32_e32 v15, v13, v12
.LBB2_29:
	s_or_b64 exec, exec, s[6:7]
                                        ; implicit-def: $vgpr12
                                        ; implicit-def: $vgpr13
.LBB2_30:
	s_andn2_saveexec_b64 s[4:5], s[4:5]
	s_cbranch_execz .LBB2_32
; %bb.31:
	v_div_scale_f32 v15, s[2:3], v12, v12, v13
	v_div_scale_f32 v16, vcc, v13, v12, v13
	s_mov_b32 s2, 0xf800000
	v_rcp_f32_e32 v17, v15
	v_fma_f32 v18, -v15, v17, 1.0
	v_fmac_f32_e32 v17, v18, v17
	v_mul_f32_e32 v18, v16, v17
	v_fma_f32 v19, -v15, v18, v16
	v_fmac_f32_e32 v18, v19, v17
	v_fma_f32 v15, -v15, v18, v16
	v_div_fmas_f32 v15, v15, v17, v18
	v_mov_b32_e32 v16, 0x260
	v_div_fixup_f32 v13, v15, v12, v13
	v_fma_f32 v13, v13, v13, 1.0
	v_mul_f32_e32 v15, 0x4f800000, v13
	v_cmp_gt_f32_e32 vcc, s2, v13
	v_cndmask_b32_e32 v13, v13, v15, vcc
	v_sqrt_f32_e32 v15, v13
	v_add_u32_e32 v17, -1, v15
	v_add_u32_e32 v18, 1, v15
	v_fma_f32 v19, -v17, v15, v13
	v_fma_f32 v20, -v18, v15, v13
	v_cmp_ge_f32_e64 s[2:3], 0, v19
	v_cndmask_b32_e64 v15, v15, v17, s[2:3]
	v_cmp_lt_f32_e64 s[2:3], 0, v20
	v_cndmask_b32_e64 v15, v15, v18, s[2:3]
	v_mul_f32_e32 v17, 0x37800000, v15
	v_cndmask_b32_e32 v15, v15, v17, vcc
	v_cmp_class_f32_e32 vcc, v13, v16
	v_cndmask_b32_e32 v13, v15, v13, vcc
	v_mul_f32_e32 v15, v12, v13
.LBB2_32:
	s_or_b64 exec, exec, s[4:5]
	global_load_dwordx2 v[12:13], v[4:5], off
                                        ; implicit-def: $vgpr16
                                        ; implicit-def: $vgpr17
	s_and_saveexec_b64 s[2:3], s[0:1]
	s_xor_b64 s[0:1], exec, s[2:3]
	s_cbranch_execz .LBB2_34
; %bb.33:
	v_div_scale_f32 v16, s[2:3], 0, 0, v6
	v_div_scale_f32 v17, vcc, v6, 0, v6
	v_rcp_f32_e32 v18, v16
	v_fma_f32 v19, -v16, v18, 1.0
	v_fmac_f32_e32 v18, v19, v18
	v_mul_f32_e32 v19, v17, v18
	v_fma_f32 v20, -v16, v19, v17
	v_fmac_f32_e32 v19, v20, v18
	v_fma_f32 v16, -v16, v19, v17
	v_div_fmas_f32 v16, v16, v18, v19
	v_div_fixup_f32 v16, v16, 0, v6
	v_fma_f32 v17, v6, v16, 0
	v_div_scale_f32 v18, s[2:3], v17, v17, 1.0
	v_div_scale_f32 v19, vcc, 1.0, v17, 1.0
	v_rcp_f32_e32 v20, v18
	v_fma_f32 v21, -v18, v20, 1.0
	v_fmac_f32_e32 v20, v21, v20
	v_mul_f32_e32 v21, v19, v20
	v_fma_f32 v22, -v18, v21, v19
	v_fmac_f32_e32 v21, v22, v20
	v_fma_f32 v18, -v18, v21, v19
	v_div_fmas_f32 v18, v18, v20, v21
	s_waitcnt vmcnt(0)
	v_fma_f32 v19, v16, v12, v13
	v_fma_f32 v12, v16, v13, -v12
	v_div_fixup_f32 v13, v18, v17, 1.0
	v_mul_f32_e32 v16, v13, v19
	v_mul_f32_e32 v17, v13, v12
                                        ; implicit-def: $vgpr12_vgpr13
.LBB2_34:
	s_andn2_saveexec_b64 s[0:1], s[0:1]
	s_cbranch_execz .LBB2_36
; %bb.35:
	v_div_scale_f32 v16, s[2:3], v6, v6, 0
	v_div_scale_f32 v17, vcc, 0, v6, 0
	v_rcp_f32_e32 v18, v16
	v_fma_f32 v19, -v16, v18, 1.0
	v_fmac_f32_e32 v18, v19, v18
	v_mul_f32_e32 v19, v17, v18
	v_fma_f32 v20, -v16, v19, v17
	v_fmac_f32_e32 v19, v20, v18
	v_fma_f32 v16, -v16, v19, v17
	v_div_fmas_f32 v16, v16, v18, v19
	v_div_fixup_f32 v16, v16, v6, 0
	v_fma_f32 v17, 0, v16, v6
	v_div_scale_f32 v18, s[2:3], v17, v17, 1.0
	v_div_scale_f32 v19, vcc, 1.0, v17, 1.0
	v_rcp_f32_e32 v20, v18
	v_fma_f32 v21, -v18, v20, 1.0
	v_fmac_f32_e32 v20, v21, v20
	v_mul_f32_e32 v21, v19, v20
	v_fma_f32 v22, -v18, v21, v19
	v_fmac_f32_e32 v21, v22, v20
	v_fma_f32 v18, -v18, v21, v19
	v_div_fmas_f32 v18, v18, v20, v21
	s_waitcnt vmcnt(0)
	v_fma_f32 v19, v16, v13, v12
	v_fma_f32 v12, -v16, v12, v13
	v_div_fixup_f32 v13, v18, v17, 1.0
	v_mul_f32_e32 v16, v13, v19
	v_mul_f32_e32 v17, v13, v12
.LBB2_36:
	s_or_b64 exec, exec, s[0:1]
	v_cmp_gt_f32_e32 vcc, 0, v16
	s_waitcnt vmcnt(0)
	v_cndmask_b32_e64 v13, v16, -v16, vcc
	v_cmp_gt_f32_e32 vcc, 0, v17
	v_cndmask_b32_e64 v16, v17, -v17, vcc
	v_cmp_ngt_f32_e32 vcc, v13, v16
                                        ; implicit-def: $vgpr12
	s_and_saveexec_b64 s[0:1], vcc
	s_xor_b64 s[2:3], exec, s[0:1]
	s_cbranch_execz .LBB2_40
; %bb.37:
	v_mov_b32_e32 v12, 0
	v_cmp_neq_f32_e32 vcc, 0, v17
	s_and_saveexec_b64 s[4:5], vcc
	s_cbranch_execz .LBB2_39
; %bb.38:
	v_div_scale_f32 v12, s[0:1], v16, v16, v13
	v_div_scale_f32 v17, vcc, v13, v16, v13
	s_mov_b32 s0, 0xf800000
	v_rcp_f32_e32 v18, v12
	v_fma_f32 v19, -v12, v18, 1.0
	v_fmac_f32_e32 v18, v19, v18
	v_mul_f32_e32 v19, v17, v18
	v_fma_f32 v20, -v12, v19, v17
	v_fmac_f32_e32 v19, v20, v18
	v_fma_f32 v12, -v12, v19, v17
	v_div_fmas_f32 v12, v12, v18, v19
	v_mov_b32_e32 v17, 0x260
	v_div_fixup_f32 v12, v12, v16, v13
	v_fma_f32 v12, v12, v12, 1.0
	v_mul_f32_e32 v13, 0x4f800000, v12
	v_cmp_gt_f32_e32 vcc, s0, v12
	v_cndmask_b32_e32 v12, v12, v13, vcc
	v_sqrt_f32_e32 v13, v12
	v_add_u32_e32 v18, -1, v13
	v_add_u32_e32 v19, 1, v13
	v_fma_f32 v20, -v18, v13, v12
	v_fma_f32 v21, -v19, v13, v12
	v_cmp_ge_f32_e64 s[0:1], 0, v20
	v_cndmask_b32_e64 v13, v13, v18, s[0:1]
	v_cmp_lt_f32_e64 s[0:1], 0, v21
	v_cndmask_b32_e64 v13, v13, v19, s[0:1]
	v_mul_f32_e32 v18, 0x37800000, v13
	v_cndmask_b32_e32 v13, v13, v18, vcc
	v_cmp_class_f32_e32 vcc, v12, v17
	v_cndmask_b32_e32 v12, v13, v12, vcc
	v_mul_f32_e32 v12, v16, v12
.LBB2_39:
	s_or_b64 exec, exec, s[4:5]
                                        ; implicit-def: $vgpr13
                                        ; implicit-def: $vgpr16
.LBB2_40:
	s_andn2_saveexec_b64 s[2:3], s[2:3]
	s_cbranch_execz .LBB2_42
; %bb.41:
	v_div_scale_f32 v12, s[0:1], v13, v13, v16
	v_div_scale_f32 v17, vcc, v16, v13, v16
	s_mov_b32 s0, 0xf800000
	v_rcp_f32_e32 v18, v12
	v_fma_f32 v19, -v12, v18, 1.0
	v_fmac_f32_e32 v18, v19, v18
	v_mul_f32_e32 v19, v17, v18
	v_fma_f32 v20, -v12, v19, v17
	v_fmac_f32_e32 v19, v20, v18
	v_fma_f32 v12, -v12, v19, v17
	v_div_fmas_f32 v12, v12, v18, v19
	v_mov_b32_e32 v17, 0x260
	v_div_fixup_f32 v12, v12, v13, v16
	v_fma_f32 v12, v12, v12, 1.0
	v_mul_f32_e32 v16, 0x4f800000, v12
	v_cmp_gt_f32_e32 vcc, s0, v12
	v_cndmask_b32_e32 v12, v12, v16, vcc
	v_sqrt_f32_e32 v16, v12
	v_add_u32_e32 v18, -1, v16
	v_add_u32_e32 v19, 1, v16
	v_fma_f32 v20, -v18, v16, v12
	v_fma_f32 v21, -v19, v16, v12
	v_cmp_ge_f32_e64 s[0:1], 0, v20
	v_cndmask_b32_e64 v16, v16, v18, s[0:1]
	v_cmp_lt_f32_e64 s[0:1], 0, v21
	v_cndmask_b32_e64 v16, v16, v19, s[0:1]
	v_mul_f32_e32 v18, 0x37800000, v16
	v_cndmask_b32_e32 v16, v16, v18, vcc
	v_cmp_class_f32_e32 vcc, v12, v17
	v_cndmask_b32_e32 v12, v16, v12, vcc
	v_mul_f32_e32 v12, v13, v12
.LBB2_42:
	s_or_b64 exec, exec, s[2:3]
	v_cmp_gt_f32_e32 vcc, 0, v10
	v_cndmask_b32_e64 v13, v10, -v10, vcc
	v_cmp_ngt_f32_e64 s[0:1], v13, v14
                                        ; implicit-def: $vgpr18
	s_and_saveexec_b64 s[2:3], s[0:1]
	s_xor_b64 s[4:5], exec, s[2:3]
	s_cbranch_execz .LBB2_46
; %bb.43:
	v_mov_b32_e32 v18, 0
	v_cmp_neq_f32_e32 vcc, 0, v7
	s_and_saveexec_b64 s[6:7], vcc
	s_cbranch_execz .LBB2_45
; %bb.44:
	v_div_scale_f32 v16, s[2:3], v14, v14, v13
	v_div_scale_f32 v17, vcc, v13, v14, v13
	s_mov_b32 s2, 0xf800000
	v_rcp_f32_e32 v18, v16
	v_fma_f32 v19, -v16, v18, 1.0
	v_fmac_f32_e32 v18, v19, v18
	v_mul_f32_e32 v19, v17, v18
	v_fma_f32 v20, -v16, v19, v17
	v_fmac_f32_e32 v19, v20, v18
	v_fma_f32 v16, -v16, v19, v17
	v_div_fmas_f32 v16, v16, v18, v19
	v_mov_b32_e32 v18, 0x260
	v_div_fixup_f32 v16, v16, v14, v13
	v_fma_f32 v16, v16, v16, 1.0
	v_mul_f32_e32 v17, 0x4f800000, v16
	v_cmp_gt_f32_e32 vcc, s2, v16
	v_cndmask_b32_e32 v16, v16, v17, vcc
	v_sqrt_f32_e32 v17, v16
	v_add_u32_e32 v19, -1, v17
	v_add_u32_e32 v20, 1, v17
	v_fma_f32 v21, -v19, v17, v16
	v_fma_f32 v22, -v20, v17, v16
	v_cmp_ge_f32_e64 s[2:3], 0, v21
	v_cndmask_b32_e64 v17, v17, v19, s[2:3]
	v_cmp_lt_f32_e64 s[2:3], 0, v22
	v_cndmask_b32_e64 v17, v17, v20, s[2:3]
	v_mul_f32_e32 v19, 0x37800000, v17
	v_cndmask_b32_e32 v17, v17, v19, vcc
	v_cmp_class_f32_e32 vcc, v16, v18
	v_cndmask_b32_e32 v16, v17, v16, vcc
	v_mul_f32_e32 v18, v14, v16
.LBB2_45:
	s_or_b64 exec, exec, s[6:7]
.LBB2_46:
	s_andn2_saveexec_b64 s[4:5], s[4:5]
	s_cbranch_execz .LBB2_48
; %bb.47:
	v_div_scale_f32 v16, s[2:3], v13, v13, v14
	v_div_scale_f32 v17, vcc, v14, v13, v14
	s_mov_b32 s2, 0xf800000
	v_rcp_f32_e32 v18, v16
	v_fma_f32 v19, -v16, v18, 1.0
	v_fmac_f32_e32 v18, v19, v18
	v_mul_f32_e32 v19, v17, v18
	v_fma_f32 v20, -v16, v19, v17
	v_fmac_f32_e32 v19, v20, v18
	v_fma_f32 v16, -v16, v19, v17
	v_div_fmas_f32 v16, v16, v18, v19
	v_mov_b32_e32 v18, 0x260
	v_div_fixup_f32 v16, v16, v13, v14
	v_fma_f32 v16, v16, v16, 1.0
	v_mul_f32_e32 v17, 0x4f800000, v16
	v_cmp_gt_f32_e32 vcc, s2, v16
	v_cndmask_b32_e32 v16, v16, v17, vcc
	v_sqrt_f32_e32 v17, v16
	v_add_u32_e32 v19, -1, v17
	v_add_u32_e32 v20, 1, v17
	v_fma_f32 v21, -v19, v17, v16
	v_fma_f32 v22, -v20, v17, v16
	v_cmp_ge_f32_e64 s[2:3], 0, v21
	v_cndmask_b32_e64 v17, v17, v19, s[2:3]
	v_cmp_lt_f32_e64 s[2:3], 0, v22
	v_cndmask_b32_e64 v17, v17, v20, s[2:3]
	v_mul_f32_e32 v19, 0x37800000, v17
	v_cndmask_b32_e32 v17, v17, v19, vcc
	v_cmp_class_f32_e32 vcc, v16, v18
	v_cndmask_b32_e32 v16, v17, v16, vcc
	v_mul_f32_e32 v18, v13, v16
.LBB2_48:
	s_or_b64 exec, exec, s[4:5]
	v_cmp_lg_f32_e32 vcc, 0, v18
                                        ; implicit-def: $vgpr16
                                        ; implicit-def: $vgpr17
	s_and_saveexec_b64 s[2:3], vcc
	s_xor_b64 s[2:3], exec, s[2:3]
	s_cbranch_execz .LBB2_50
; %bb.49:
	v_div_scale_f32 v16, s[4:5], v18, v18, 0
	v_div_scale_f32 v17, vcc, 0, v18, 0
	v_rcp_f32_e32 v19, v16
	v_fma_f32 v20, -v16, v19, 1.0
	v_fmac_f32_e32 v19, v20, v19
	v_mul_f32_e32 v20, v17, v19
	v_fma_f32 v21, -v16, v20, v17
	v_fmac_f32_e32 v20, v21, v19
	v_fma_f32 v16, -v16, v20, v17
	v_div_fmas_f32 v16, v16, v19, v20
	v_div_fixup_f32 v16, v16, v18, 0
	v_fmac_f32_e32 v18, 0, v16
	v_div_scale_f32 v17, s[4:5], v18, v18, 1.0
	v_div_scale_f32 v19, vcc, 1.0, v18, 1.0
	v_rcp_f32_e32 v20, v17
	v_fma_f32 v21, -v17, v20, 1.0
	v_fmac_f32_e32 v20, v21, v20
	v_mul_f32_e32 v21, v19, v20
	v_fma_f32 v22, -v17, v21, v19
	v_fmac_f32_e32 v21, v22, v20
	v_fma_f32 v17, -v17, v21, v19
	v_div_fmas_f32 v17, v17, v20, v21
	v_fma_f32 v19, v16, v11, v10
	v_fma_f32 v10, -v16, v10, v11
	v_div_fixup_f32 v11, v17, v18, 1.0
	v_mul_f32_e32 v16, v19, v11
	v_mul_f32_e32 v17, v10, v11
                                        ; implicit-def: $vgpr18
                                        ; implicit-def: $vgpr10_vgpr11
	s_andn2_saveexec_b64 s[2:3], s[2:3]
	s_cbranch_execz .LBB2_52
	s_branch .LBB2_51
.LBB2_50:
	s_andn2_saveexec_b64 s[2:3], s[2:3]
	s_cbranch_execz .LBB2_52
.LBB2_51:
	v_div_scale_f32 v16, s[4:5], 0, 0, v18
	v_div_scale_f32 v17, vcc, v18, 0, v18
	v_rcp_f32_e32 v19, v16
	v_fma_f32 v20, -v16, v19, 1.0
	v_fmac_f32_e32 v19, v20, v19
	v_mul_f32_e32 v20, v17, v19
	v_fma_f32 v21, -v16, v20, v17
	v_fmac_f32_e32 v20, v21, v19
	v_fma_f32 v16, -v16, v20, v17
	v_div_fmas_f32 v16, v16, v19, v20
	v_div_fixup_f32 v16, v16, 0, v18
	v_fma_f32 v17, v18, v16, 0
	v_div_scale_f32 v18, s[4:5], v17, v17, 1.0
	v_div_scale_f32 v19, vcc, 1.0, v17, 1.0
	v_rcp_f32_e32 v20, v18
	v_fma_f32 v21, -v18, v20, 1.0
	v_fmac_f32_e32 v20, v21, v20
	v_mul_f32_e32 v21, v19, v20
	v_fma_f32 v22, -v18, v21, v19
	v_fmac_f32_e32 v21, v22, v20
	v_fma_f32 v18, -v18, v21, v19
	v_div_fmas_f32 v18, v18, v20, v21
	v_fma_f32 v19, v16, v10, v11
	v_fma_f32 v10, v16, v11, -v10
	v_div_fixup_f32 v11, v18, v17, 1.0
	v_mul_f32_e32 v16, v19, v11
	v_mul_f32_e32 v17, v10, v11
.LBB2_52:
	s_or_b64 exec, exec, s[2:3]
                                        ; implicit-def: $vgpr10
	s_and_saveexec_b64 s[2:3], s[0:1]
	s_xor_b64 s[2:3], exec, s[2:3]
	s_cbranch_execz .LBB2_56
; %bb.53:
	v_mov_b32_e32 v10, 0
	v_cmp_neq_f32_e32 vcc, 0, v7
	s_and_saveexec_b64 s[4:5], vcc
	s_cbranch_execz .LBB2_55
; %bb.54:
	v_div_scale_f32 v7, s[0:1], v14, v14, v13
	v_div_scale_f32 v10, vcc, v13, v14, v13
	s_mov_b32 s0, 0xf800000
	v_rcp_f32_e32 v11, v7
	v_fma_f32 v18, -v7, v11, 1.0
	v_fmac_f32_e32 v11, v18, v11
	v_mul_f32_e32 v18, v10, v11
	v_fma_f32 v19, -v7, v18, v10
	v_fmac_f32_e32 v18, v19, v11
	v_fma_f32 v7, -v7, v18, v10
	v_div_fmas_f32 v7, v7, v11, v18
	v_mov_b32_e32 v11, 0x260
	v_div_fixup_f32 v7, v7, v14, v13
	v_fma_f32 v7, v7, v7, 1.0
	v_mul_f32_e32 v10, 0x4f800000, v7
	v_cmp_gt_f32_e32 vcc, s0, v7
	v_cndmask_b32_e32 v7, v7, v10, vcc
	v_sqrt_f32_e32 v10, v7
	v_add_u32_e32 v13, -1, v10
	v_add_u32_e32 v18, 1, v10
	v_fma_f32 v19, -v13, v10, v7
	v_fma_f32 v20, -v18, v10, v7
	v_cmp_ge_f32_e64 s[0:1], 0, v19
	v_cndmask_b32_e64 v10, v10, v13, s[0:1]
	v_cmp_lt_f32_e64 s[0:1], 0, v20
	v_cndmask_b32_e64 v10, v10, v18, s[0:1]
	v_mul_f32_e32 v13, 0x37800000, v10
	v_cndmask_b32_e32 v10, v10, v13, vcc
	v_cmp_class_f32_e32 vcc, v7, v11
	v_cndmask_b32_e32 v7, v10, v7, vcc
	v_mul_f32_e32 v10, v14, v7
.LBB2_55:
	s_or_b64 exec, exec, s[4:5]
                                        ; implicit-def: $vgpr13
                                        ; implicit-def: $vgpr14
	s_andn2_saveexec_b64 s[2:3], s[2:3]
	s_cbranch_execnz .LBB2_57
	s_branch .LBB2_58
.LBB2_56:
	s_andn2_saveexec_b64 s[2:3], s[2:3]
	s_cbranch_execz .LBB2_58
.LBB2_57:
	v_div_scale_f32 v7, s[0:1], v13, v13, v14
	v_div_scale_f32 v10, vcc, v14, v13, v14
	s_mov_b32 s0, 0xf800000
	v_rcp_f32_e32 v11, v7
	v_fma_f32 v18, -v7, v11, 1.0
	v_fmac_f32_e32 v11, v18, v11
	v_mul_f32_e32 v18, v10, v11
	v_fma_f32 v19, -v7, v18, v10
	v_fmac_f32_e32 v18, v19, v11
	v_fma_f32 v7, -v7, v18, v10
	v_div_fmas_f32 v7, v7, v11, v18
	v_mov_b32_e32 v11, 0x260
	v_div_fixup_f32 v7, v7, v13, v14
	v_fma_f32 v7, v7, v7, 1.0
	v_mul_f32_e32 v10, 0x4f800000, v7
	v_cmp_gt_f32_e32 vcc, s0, v7
	v_cndmask_b32_e32 v7, v7, v10, vcc
	v_sqrt_f32_e32 v10, v7
	v_add_u32_e32 v14, -1, v10
	v_add_u32_e32 v18, 1, v10
	v_fma_f32 v19, -v14, v10, v7
	v_fma_f32 v20, -v18, v10, v7
	v_cmp_ge_f32_e64 s[0:1], 0, v19
	v_cndmask_b32_e64 v10, v10, v14, s[0:1]
	v_cmp_lt_f32_e64 s[0:1], 0, v20
	v_cndmask_b32_e64 v10, v10, v18, s[0:1]
	v_mul_f32_e32 v14, 0x37800000, v10
	v_cndmask_b32_e32 v10, v10, v14, vcc
	v_cmp_class_f32_e32 vcc, v7, v11
	v_cndmask_b32_e32 v7, v10, v7, vcc
	v_mul_f32_e32 v10, v13, v7
.LBB2_58:
	s_or_b64 exec, exec, s[2:3]
	v_mul_f32_e32 v7, v12, v12
	v_fmac_f32_e32 v7, v15, v15
	s_mov_b32 s0, 0xf800000
	v_mul_f32_e32 v11, 0x4f800000, v7
	v_cmp_gt_f32_e32 vcc, s0, v7
	v_cndmask_b32_e32 v7, v7, v11, vcc
	v_sqrt_f32_e32 v11, v7
	v_add_u32_e32 v12, -1, v11
	v_fma_f32 v13, -v12, v11, v7
	v_cmp_ge_f32_e64 s[0:1], 0, v13
	v_add_u32_e32 v13, 1, v11
	v_cndmask_b32_e64 v12, v11, v12, s[0:1]
	v_fma_f32 v11, -v13, v11, v7
	v_cmp_lt_f32_e64 s[0:1], 0, v11
	v_cndmask_b32_e64 v11, v12, v13, s[0:1]
	v_mul_f32_e32 v12, 0x37800000, v11
	v_cndmask_b32_e32 v11, v11, v12, vcc
	v_mov_b32_e32 v12, 0x260
	v_cmp_class_f32_e32 vcc, v7, v12
	v_cndmask_b32_e32 v7, v11, v7, vcc
	v_mul_f32_e32 v6, v6, v7
	v_div_scale_f32 v7, s[0:1], v6, v6, v10
	v_div_scale_f32 v11, vcc, v10, v6, v10
	v_rcp_f32_e32 v12, v7
	v_fma_f32 v13, -v7, v12, 1.0
	v_fmac_f32_e32 v12, v13, v12
	v_mul_f32_e32 v13, v11, v12
	v_fma_f32 v14, -v7, v13, v11
	v_fmac_f32_e32 v13, v14, v12
	v_fma_f32 v7, -v7, v13, v11
	v_div_fmas_f32 v7, v7, v12, v13
	v_cmp_lg_f32_e32 vcc, 0, v6
	v_div_fixup_f32 v7, v7, v6, v10
	global_store_dword v[8:9], v7, off
	global_load_dwordx2 v[4:5], v[4:5], off
	s_waitcnt vmcnt(0)
	v_mul_f32_e32 v7, v17, v5
	v_mul_f32_e32 v5, v16, v5
	v_fmac_f32_e32 v7, v16, v4
	v_fma_f32 v8, v17, v4, -v5
                                        ; implicit-def: $vgpr4
	s_and_saveexec_b64 s[0:1], vcc
	s_xor_b64 s[0:1], exec, s[0:1]
	s_cbranch_execz .LBB2_60
; %bb.59:
	v_div_scale_f32 v4, s[2:3], v6, v6, 0
	v_div_scale_f32 v5, vcc, 0, v6, 0
	v_rcp_f32_e32 v9, v4
	v_fma_f32 v10, -v4, v9, 1.0
	v_fmac_f32_e32 v9, v10, v9
	v_mul_f32_e32 v10, v5, v9
	v_fma_f32 v11, -v4, v10, v5
	v_fmac_f32_e32 v10, v11, v9
	v_fma_f32 v4, -v4, v10, v5
	v_div_fmas_f32 v4, v4, v9, v10
	v_div_fixup_f32 v4, v4, v6, 0
	v_fma_f32 v5, 0, v4, v6
	v_div_scale_f32 v9, s[2:3], v5, v5, 1.0
	v_div_scale_f32 v10, vcc, 1.0, v5, 1.0
	v_rcp_f32_e32 v11, v9
	v_fma_f32 v12, -v9, v11, 1.0
	v_fmac_f32_e32 v11, v12, v11
	v_mul_f32_e32 v12, v10, v11
	v_fma_f32 v13, -v9, v12, v10
	v_fmac_f32_e32 v12, v13, v11
	v_fma_f32 v9, -v9, v12, v10
	v_div_fmas_f32 v9, v9, v11, v12
	v_fma_f32 v10, v4, v8, v7
	v_fma_f32 v7, -v4, v7, v8
                                        ; implicit-def: $vgpr8
	v_div_fixup_f32 v5, v9, v5, 1.0
	v_mul_f32_e32 v4, v5, v10
	v_mul_f32_e32 v5, v5, v7
                                        ; implicit-def: $vgpr7
.LBB2_60:
	s_andn2_saveexec_b64 s[0:1], s[0:1]
	s_cbranch_execz .LBB2_62
; %bb.61:
	v_div_scale_f32 v4, s[2:3], 0, 0, v6
	v_div_scale_f32 v5, vcc, v6, 0, v6
	v_rcp_f32_e32 v9, v4
	v_fma_f32 v10, -v4, v9, 1.0
	v_fmac_f32_e32 v9, v10, v9
	v_mul_f32_e32 v10, v5, v9
	v_fma_f32 v11, -v4, v10, v5
	v_fmac_f32_e32 v10, v11, v9
	v_fma_f32 v4, -v4, v10, v5
	v_div_fmas_f32 v4, v4, v9, v10
	v_div_fixup_f32 v4, v4, 0, v6
	v_fma_f32 v5, v6, v4, 0
	v_div_scale_f32 v9, s[2:3], v5, v5, 1.0
	v_div_scale_f32 v10, vcc, 1.0, v5, 1.0
	v_rcp_f32_e32 v11, v9
	v_fma_f32 v12, -v9, v11, 1.0
	v_fmac_f32_e32 v11, v12, v11
	v_mul_f32_e32 v12, v10, v11
	v_fma_f32 v13, -v9, v12, v10
	v_fmac_f32_e32 v12, v13, v11
	v_fma_f32 v9, -v9, v12, v10
	v_div_fmas_f32 v9, v9, v11, v12
	v_fma_f32 v10, v4, v7, v8
	v_fma_f32 v7, v4, v8, -v7
	v_div_fixup_f32 v5, v9, v5, 1.0
	v_mul_f32_e32 v4, v5, v10
	v_mul_f32_e32 v5, v5, v7
.LBB2_62:
	s_or_b64 exec, exec, s[0:1]
	global_store_dwordx2 v[2:3], v[4:5], off
	v_mul_f32_e32 v2, 0, v17
	v_mul_f32_e32 v3, 0, v16
	v_fma_f32 v2, v6, v16, -v2
	v_fmac_f32_e32 v3, v6, v17
	global_store_dwordx2 v[0:1], v[2:3], off
.LBB2_63:
	s_endpgm
	.section	.rodata,"a",@progbits
	.p2align	6, 0x0
	.amdhsa_kernel _ZL19rocblas_rotg_kernelILi32EP19rocblas_complex_numIfEPfEvT0_llS4_llT1_llS4_lli
		.amdhsa_group_segment_fixed_size 0
		.amdhsa_private_segment_fixed_size 0
		.amdhsa_kernarg_size 100
		.amdhsa_user_sgpr_count 6
		.amdhsa_user_sgpr_private_segment_buffer 1
		.amdhsa_user_sgpr_dispatch_ptr 0
		.amdhsa_user_sgpr_queue_ptr 0
		.amdhsa_user_sgpr_kernarg_segment_ptr 1
		.amdhsa_user_sgpr_dispatch_id 0
		.amdhsa_user_sgpr_flat_scratch_init 0
		.amdhsa_user_sgpr_private_segment_size 0
		.amdhsa_uses_dynamic_stack 0
		.amdhsa_system_sgpr_private_segment_wavefront_offset 0
		.amdhsa_system_sgpr_workgroup_id_x 1
		.amdhsa_system_sgpr_workgroup_id_y 0
		.amdhsa_system_sgpr_workgroup_id_z 0
		.amdhsa_system_sgpr_workgroup_info 0
		.amdhsa_system_vgpr_workitem_id 0
		.amdhsa_next_free_vgpr 23
		.amdhsa_next_free_sgpr 32
		.amdhsa_reserve_vcc 1
		.amdhsa_reserve_flat_scratch 0
		.amdhsa_float_round_mode_32 0
		.amdhsa_float_round_mode_16_64 0
		.amdhsa_float_denorm_mode_32 3
		.amdhsa_float_denorm_mode_16_64 3
		.amdhsa_dx10_clamp 1
		.amdhsa_ieee_mode 1
		.amdhsa_fp16_overflow 0
		.amdhsa_exception_fp_ieee_invalid_op 0
		.amdhsa_exception_fp_denorm_src 0
		.amdhsa_exception_fp_ieee_div_zero 0
		.amdhsa_exception_fp_ieee_overflow 0
		.amdhsa_exception_fp_ieee_underflow 0
		.amdhsa_exception_fp_ieee_inexact 0
		.amdhsa_exception_int_div_zero 0
	.end_amdhsa_kernel
	.section	.text._ZL19rocblas_rotg_kernelILi32EP19rocblas_complex_numIfEPfEvT0_llS4_llT1_llS4_lli,"axG",@progbits,_ZL19rocblas_rotg_kernelILi32EP19rocblas_complex_numIfEPfEvT0_llS4_llT1_llS4_lli,comdat
.Lfunc_end2:
	.size	_ZL19rocblas_rotg_kernelILi32EP19rocblas_complex_numIfEPfEvT0_llS4_llT1_llS4_lli, .Lfunc_end2-_ZL19rocblas_rotg_kernelILi32EP19rocblas_complex_numIfEPfEvT0_llS4_llT1_llS4_lli
                                        ; -- End function
	.set _ZL19rocblas_rotg_kernelILi32EP19rocblas_complex_numIfEPfEvT0_llS4_llT1_llS4_lli.num_vgpr, 23
	.set _ZL19rocblas_rotg_kernelILi32EP19rocblas_complex_numIfEPfEvT0_llS4_llT1_llS4_lli.num_agpr, 0
	.set _ZL19rocblas_rotg_kernelILi32EP19rocblas_complex_numIfEPfEvT0_llS4_llT1_llS4_lli.numbered_sgpr, 32
	.set _ZL19rocblas_rotg_kernelILi32EP19rocblas_complex_numIfEPfEvT0_llS4_llT1_llS4_lli.num_named_barrier, 0
	.set _ZL19rocblas_rotg_kernelILi32EP19rocblas_complex_numIfEPfEvT0_llS4_llT1_llS4_lli.private_seg_size, 0
	.set _ZL19rocblas_rotg_kernelILi32EP19rocblas_complex_numIfEPfEvT0_llS4_llT1_llS4_lli.uses_vcc, 1
	.set _ZL19rocblas_rotg_kernelILi32EP19rocblas_complex_numIfEPfEvT0_llS4_llT1_llS4_lli.uses_flat_scratch, 0
	.set _ZL19rocblas_rotg_kernelILi32EP19rocblas_complex_numIfEPfEvT0_llS4_llT1_llS4_lli.has_dyn_sized_stack, 0
	.set _ZL19rocblas_rotg_kernelILi32EP19rocblas_complex_numIfEPfEvT0_llS4_llT1_llS4_lli.has_recursion, 0
	.set _ZL19rocblas_rotg_kernelILi32EP19rocblas_complex_numIfEPfEvT0_llS4_llT1_llS4_lli.has_indirect_call, 0
	.section	.AMDGPU.csdata,"",@progbits
; Kernel info:
; codeLenInByte = 5420
; TotalNumSgprs: 36
; NumVgprs: 23
; ScratchSize: 0
; MemoryBound: 0
; FloatMode: 240
; IeeeMode: 1
; LDSByteSize: 0 bytes/workgroup (compile time only)
; SGPRBlocks: 4
; VGPRBlocks: 5
; NumSGPRsForWavesPerEU: 36
; NumVGPRsForWavesPerEU: 23
; Occupancy: 10
; WaveLimiterHint : 0
; COMPUTE_PGM_RSRC2:SCRATCH_EN: 0
; COMPUTE_PGM_RSRC2:USER_SGPR: 6
; COMPUTE_PGM_RSRC2:TRAP_HANDLER: 0
; COMPUTE_PGM_RSRC2:TGID_X_EN: 1
; COMPUTE_PGM_RSRC2:TGID_Y_EN: 0
; COMPUTE_PGM_RSRC2:TGID_Z_EN: 0
; COMPUTE_PGM_RSRC2:TIDIG_COMP_CNT: 0
	.section	.text._ZL19rocblas_rotg_kernelILi32EP19rocblas_complex_numIdEPdEvT0_llS4_llT1_llS4_lli,"axG",@progbits,_ZL19rocblas_rotg_kernelILi32EP19rocblas_complex_numIdEPdEvT0_llS4_llT1_llS4_lli,comdat
	.globl	_ZL19rocblas_rotg_kernelILi32EP19rocblas_complex_numIdEPdEvT0_llS4_llT1_llS4_lli ; -- Begin function _ZL19rocblas_rotg_kernelILi32EP19rocblas_complex_numIdEPdEvT0_llS4_llT1_llS4_lli
	.p2align	8
	.type	_ZL19rocblas_rotg_kernelILi32EP19rocblas_complex_numIdEPdEvT0_llS4_llT1_llS4_lli,@function
_ZL19rocblas_rotg_kernelILi32EP19rocblas_complex_numIdEPdEvT0_llS4_llT1_llS4_lli: ; @_ZL19rocblas_rotg_kernelILi32EP19rocblas_complex_numIdEPdEvT0_llS4_llT1_llS4_lli
; %bb.0:
	s_load_dword s0, s[4:5], 0x60
	v_lshl_or_b32 v6, s6, 5, v0
	s_waitcnt lgkmcnt(0)
	v_cmp_gt_i32_e32 vcc, s0, v6
	s_and_saveexec_b64 s[0:1], vcc
	s_cbranch_execz .LBB3_63
; %bb.1:
	s_load_dwordx16 s[8:23], s[4:5], 0x0
	s_waitcnt lgkmcnt(0)
	v_mad_u64_u32 v[0:1], s[0:1], s12, v6, 0
	v_mad_u64_u32 v[1:2], s[0:1], s13, v6, v[1:2]
	v_mov_b32_e32 v2, s9
	s_lshl_b64 s[0:1], s[10:11], 4
	v_lshlrev_b64 v[0:1], 4, v[0:1]
	v_mov_b32_e32 v3, s1
	v_add_co_u32_e32 v0, vcc, s8, v0
	v_addc_co_u32_e32 v1, vcc, v2, v1, vcc
	v_add_co_u32_e32 v8, vcc, s0, v0
	v_addc_co_u32_e32 v9, vcc, v1, v3, vcc
	global_load_dwordx4 v[0:3], v[8:9], off
	s_waitcnt vmcnt(0)
	v_cmp_gt_f64_e32 vcc, 0, v[0:1]
	v_xor_b32_e32 v4, 0x80000000, v1
	v_xor_b32_e32 v5, 0x80000000, v3
	v_mov_b32_e32 v12, v0
	v_mov_b32_e32 v14, v2
	v_cndmask_b32_e32 v13, v1, v4, vcc
	v_cmp_gt_f64_e32 vcc, 0, v[2:3]
	v_cndmask_b32_e32 v15, v3, v5, vcc
	v_cmp_ngt_f64_e64 s[0:1], v[12:13], v[14:15]
                                        ; implicit-def: $vgpr4_vgpr5
	s_and_saveexec_b64 s[2:3], s[0:1]
	s_xor_b64 s[2:3], exec, s[2:3]
	s_cbranch_execz .LBB3_5
; %bb.2:
	v_cmp_neq_f64_e32 vcc, 0, v[2:3]
	v_mov_b32_e32 v4, 0
	v_mov_b32_e32 v5, 0
	s_and_saveexec_b64 s[6:7], vcc
	s_cbranch_execz .LBB3_4
; %bb.3:
	v_div_scale_f64 v[4:5], s[8:9], v[14:15], v[14:15], v[12:13]
	s_mov_b32 s8, 0
	s_brev_b32 s9, 8
	v_mov_b32_e32 v7, 0x100
	v_rcp_f64_e32 v[10:11], v[4:5]
	v_fma_f64 v[16:17], -v[4:5], v[10:11], 1.0
	v_fma_f64 v[10:11], v[10:11], v[16:17], v[10:11]
	v_div_scale_f64 v[16:17], vcc, v[12:13], v[14:15], v[12:13]
	v_fma_f64 v[18:19], -v[4:5], v[10:11], 1.0
	v_fma_f64 v[10:11], v[10:11], v[18:19], v[10:11]
	v_mul_f64 v[18:19], v[16:17], v[10:11]
	v_fma_f64 v[4:5], -v[4:5], v[18:19], v[16:17]
	v_div_fmas_f64 v[4:5], v[4:5], v[10:11], v[18:19]
	v_div_fixup_f64 v[4:5], v[4:5], v[14:15], v[12:13]
	v_fma_f64 v[4:5], v[4:5], v[4:5], 1.0
	v_cmp_gt_f64_e32 vcc, s[8:9], v[4:5]
	v_cndmask_b32_e32 v7, 0, v7, vcc
	v_ldexp_f64 v[4:5], v[4:5], v7
	v_mov_b32_e32 v7, 0xffffff80
	v_cndmask_b32_e32 v7, 0, v7, vcc
	v_rsq_f64_e32 v[10:11], v[4:5]
	v_mul_f64 v[16:17], v[4:5], v[10:11]
	v_mul_f64 v[10:11], v[10:11], 0.5
	v_fma_f64 v[18:19], -v[10:11], v[16:17], 0.5
	v_fma_f64 v[16:17], v[16:17], v[18:19], v[16:17]
	v_fma_f64 v[10:11], v[10:11], v[18:19], v[10:11]
	v_fma_f64 v[18:19], -v[16:17], v[16:17], v[4:5]
	v_fma_f64 v[16:17], v[18:19], v[10:11], v[16:17]
	v_fma_f64 v[18:19], -v[16:17], v[16:17], v[4:5]
	v_fma_f64 v[10:11], v[18:19], v[10:11], v[16:17]
	v_mov_b32_e32 v16, 0x260
	v_cmp_class_f64_e32 vcc, v[4:5], v16
	v_ldexp_f64 v[10:11], v[10:11], v7
	v_cndmask_b32_e32 v5, v11, v5, vcc
	v_cndmask_b32_e32 v4, v10, v4, vcc
	v_mul_f64 v[4:5], v[14:15], v[4:5]
.LBB3_4:
	s_or_b64 exec, exec, s[6:7]
.LBB3_5:
	s_andn2_saveexec_b64 s[2:3], s[2:3]
	s_cbranch_execz .LBB3_7
; %bb.6:
	v_div_scale_f64 v[4:5], s[6:7], v[12:13], v[12:13], v[14:15]
	s_mov_b32 s6, 0
	s_brev_b32 s7, 8
	v_mov_b32_e32 v7, 0x100
	v_rcp_f64_e32 v[10:11], v[4:5]
	v_fma_f64 v[16:17], -v[4:5], v[10:11], 1.0
	v_fma_f64 v[10:11], v[10:11], v[16:17], v[10:11]
	v_div_scale_f64 v[16:17], vcc, v[14:15], v[12:13], v[14:15]
	v_fma_f64 v[18:19], -v[4:5], v[10:11], 1.0
	v_fma_f64 v[10:11], v[10:11], v[18:19], v[10:11]
	v_mul_f64 v[18:19], v[16:17], v[10:11]
	v_fma_f64 v[4:5], -v[4:5], v[18:19], v[16:17]
	v_div_fmas_f64 v[4:5], v[4:5], v[10:11], v[18:19]
	v_div_fixup_f64 v[4:5], v[4:5], v[12:13], v[14:15]
	v_fma_f64 v[4:5], v[4:5], v[4:5], 1.0
	v_cmp_gt_f64_e32 vcc, s[6:7], v[4:5]
	v_cndmask_b32_e32 v7, 0, v7, vcc
	v_ldexp_f64 v[4:5], v[4:5], v7
	v_mov_b32_e32 v7, 0xffffff80
	v_cndmask_b32_e32 v7, 0, v7, vcc
	v_rsq_f64_e32 v[10:11], v[4:5]
	v_mul_f64 v[16:17], v[4:5], v[10:11]
	v_mul_f64 v[10:11], v[10:11], 0.5
	v_fma_f64 v[18:19], -v[10:11], v[16:17], 0.5
	v_fma_f64 v[16:17], v[16:17], v[18:19], v[16:17]
	v_fma_f64 v[10:11], v[10:11], v[18:19], v[10:11]
	v_fma_f64 v[18:19], -v[16:17], v[16:17], v[4:5]
	v_fma_f64 v[16:17], v[18:19], v[10:11], v[16:17]
	v_fma_f64 v[18:19], -v[16:17], v[16:17], v[4:5]
	v_fma_f64 v[10:11], v[18:19], v[10:11], v[16:17]
	v_mov_b32_e32 v16, 0x260
	v_cmp_class_f64_e32 vcc, v[4:5], v16
	v_ldexp_f64 v[10:11], v[10:11], v7
	v_cndmask_b32_e32 v5, v11, v5, vcc
	v_cndmask_b32_e32 v4, v10, v4, vcc
	v_mul_f64 v[4:5], v[12:13], v[4:5]
.LBB3_7:
	s_or_b64 exec, exec, s[2:3]
	v_mad_u64_u32 v[10:11], s[2:3], s18, v6, 0
	s_load_dwordx8 s[24:31], s[4:5], 0x40
	v_mov_b32_e32 v7, v11
	v_mad_u64_u32 v[16:17], s[2:3], s19, v6, v[7:8]
	s_waitcnt lgkmcnt(0)
	v_mad_u64_u32 v[18:19], s[2:3], s24, v6, 0
	v_mov_b32_e32 v11, v16
	v_lshlrev_b64 v[10:11], 4, v[10:11]
	v_mov_b32_e32 v7, s15
	v_add_co_u32_e32 v16, vcc, s14, v10
	v_addc_co_u32_e32 v17, vcc, v7, v11, vcc
	v_mov_b32_e32 v7, v19
	v_mad_u64_u32 v[10:11], s[4:5], s25, v6, v[7:8]
	s_lshl_b64 s[2:3], s[16:17], 4
	v_mov_b32_e32 v20, s3
	v_add_co_u32_e32 v16, vcc, s2, v16
	v_addc_co_u32_e32 v17, vcc, v17, v20, vcc
	v_mov_b32_e32 v19, v10
	v_mad_u64_u32 v[20:21], s[2:3], s30, v6, 0
	v_lshlrev_b64 v[10:11], 3, v[18:19]
	v_mov_b32_e32 v7, s21
	v_add_co_u32_e32 v10, vcc, s20, v10
	v_addc_co_u32_e32 v11, vcc, v7, v11, vcc
	v_mov_b32_e32 v7, v21
	v_mad_u64_u32 v[6:7], s[4:5], s31, v6, v[7:8]
	s_lshl_b64 s[2:3], s[22:23], 3
	v_mov_b32_e32 v19, s3
	v_add_co_u32_e32 v18, vcc, s2, v10
	v_addc_co_u32_e32 v19, vcc, v11, v19, vcc
	v_mov_b32_e32 v21, v6
	v_cmp_eq_f64_e32 vcc, 0, v[4:5]
	v_lshlrev_b64 v[6:7], 4, v[20:21]
	v_mov_b32_e32 v10, s27
	v_add_co_u32_e64 v4, s[2:3], s26, v6
	v_addc_co_u32_e64 v5, s[2:3], v10, v7, s[2:3]
	s_lshl_b64 s[2:3], s[28:29], 4
	v_mov_b32_e32 v6, s3
	v_add_co_u32_e64 v10, s[2:3], s2, v4
	v_addc_co_u32_e64 v11, s[2:3], v5, v6, s[2:3]
	s_and_saveexec_b64 s[2:3], vcc
	s_xor_b64 s[2:3], exec, s[2:3]
	s_cbranch_execz .LBB3_9
; %bb.8:
	v_mov_b32_e32 v0, 0
	v_mov_b32_e32 v1, v0
	global_store_dwordx2 v[18:19], v[0:1], off
	v_mov_b32_e32 v1, 0x3ff00000
	v_mov_b32_e32 v2, v0
	;; [unrolled: 1-line block ×3, first 2 shown]
	global_store_dwordx4 v[10:11], v[0:3], off
	global_load_dwordx4 v[0:3], v[16:17], off
                                        ; implicit-def: $vgpr10_vgpr11
                                        ; implicit-def: $vgpr18_vgpr19
                                        ; implicit-def: $vgpr16_vgpr17
                                        ; implicit-def: $vgpr12_vgpr13
                                        ; implicit-def: $vgpr14_vgpr15
	s_waitcnt vmcnt(0)
	global_store_dwordx4 v[8:9], v[0:3], off
                                        ; implicit-def: $vgpr8_vgpr9
                                        ; implicit-def: $vgpr0_vgpr1
.LBB3_9:
	s_andn2_saveexec_b64 s[2:3], s[2:3]
	s_cbranch_execz .LBB3_63
; %bb.10:
                                        ; implicit-def: $vgpr20_vgpr21
	s_and_saveexec_b64 s[2:3], s[0:1]
	s_xor_b64 s[2:3], exec, s[2:3]
	s_cbranch_execz .LBB3_14
; %bb.11:
	v_cmp_neq_f64_e32 vcc, 0, v[2:3]
	v_mov_b32_e32 v20, 0
	v_mov_b32_e32 v21, 0
	s_and_saveexec_b64 s[4:5], vcc
	s_cbranch_execz .LBB3_13
; %bb.12:
	v_div_scale_f64 v[4:5], s[6:7], v[14:15], v[14:15], v[12:13]
	s_mov_b32 s6, 0
	s_brev_b32 s7, 8
	v_rcp_f64_e32 v[6:7], v[4:5]
	v_fma_f64 v[20:21], -v[4:5], v[6:7], 1.0
	v_fma_f64 v[6:7], v[6:7], v[20:21], v[6:7]
	v_div_scale_f64 v[20:21], vcc, v[12:13], v[14:15], v[12:13]
	v_fma_f64 v[22:23], -v[4:5], v[6:7], 1.0
	v_fma_f64 v[6:7], v[6:7], v[22:23], v[6:7]
	v_mul_f64 v[22:23], v[20:21], v[6:7]
	v_fma_f64 v[4:5], -v[4:5], v[22:23], v[20:21]
	v_div_fmas_f64 v[4:5], v[4:5], v[6:7], v[22:23]
	v_mov_b32_e32 v6, 0x100
	v_div_fixup_f64 v[4:5], v[4:5], v[14:15], v[12:13]
	v_fma_f64 v[4:5], v[4:5], v[4:5], 1.0
	v_cmp_gt_f64_e32 vcc, s[6:7], v[4:5]
	v_cndmask_b32_e32 v6, 0, v6, vcc
	v_ldexp_f64 v[4:5], v[4:5], v6
	v_rsq_f64_e32 v[6:7], v[4:5]
	v_mul_f64 v[20:21], v[4:5], v[6:7]
	v_mul_f64 v[6:7], v[6:7], 0.5
	v_fma_f64 v[22:23], -v[6:7], v[20:21], 0.5
	v_fma_f64 v[20:21], v[20:21], v[22:23], v[20:21]
	v_fma_f64 v[6:7], v[6:7], v[22:23], v[6:7]
	v_fma_f64 v[22:23], -v[20:21], v[20:21], v[4:5]
	v_fma_f64 v[20:21], v[22:23], v[6:7], v[20:21]
	v_fma_f64 v[22:23], -v[20:21], v[20:21], v[4:5]
	v_fma_f64 v[6:7], v[22:23], v[6:7], v[20:21]
	v_mov_b32_e32 v20, 0xffffff80
	v_mov_b32_e32 v21, 0x260
	v_cndmask_b32_e32 v20, 0, v20, vcc
	v_cmp_class_f64_e32 vcc, v[4:5], v21
	v_ldexp_f64 v[6:7], v[6:7], v20
	v_cndmask_b32_e32 v5, v7, v5, vcc
	v_cndmask_b32_e32 v4, v6, v4, vcc
	v_mul_f64 v[20:21], v[14:15], v[4:5]
.LBB3_13:
	s_or_b64 exec, exec, s[4:5]
.LBB3_14:
	s_andn2_saveexec_b64 s[2:3], s[2:3]
	s_cbranch_execz .LBB3_16
; %bb.15:
	v_div_scale_f64 v[4:5], s[4:5], v[12:13], v[12:13], v[14:15]
	s_mov_b32 s4, 0
	s_brev_b32 s5, 8
	v_rcp_f64_e32 v[6:7], v[4:5]
	v_fma_f64 v[20:21], -v[4:5], v[6:7], 1.0
	v_fma_f64 v[6:7], v[6:7], v[20:21], v[6:7]
	v_div_scale_f64 v[20:21], vcc, v[14:15], v[12:13], v[14:15]
	v_fma_f64 v[22:23], -v[4:5], v[6:7], 1.0
	v_fma_f64 v[6:7], v[6:7], v[22:23], v[6:7]
	v_mul_f64 v[22:23], v[20:21], v[6:7]
	v_fma_f64 v[4:5], -v[4:5], v[22:23], v[20:21]
	v_div_fmas_f64 v[4:5], v[4:5], v[6:7], v[22:23]
	v_mov_b32_e32 v6, 0x100
	v_div_fixup_f64 v[4:5], v[4:5], v[12:13], v[14:15]
	v_fma_f64 v[4:5], v[4:5], v[4:5], 1.0
	v_cmp_gt_f64_e32 vcc, s[4:5], v[4:5]
	v_cndmask_b32_e32 v6, 0, v6, vcc
	v_ldexp_f64 v[4:5], v[4:5], v6
	v_rsq_f64_e32 v[6:7], v[4:5]
	v_mul_f64 v[20:21], v[4:5], v[6:7]
	v_mul_f64 v[6:7], v[6:7], 0.5
	v_fma_f64 v[22:23], -v[6:7], v[20:21], 0.5
	v_fma_f64 v[20:21], v[20:21], v[22:23], v[20:21]
	v_fma_f64 v[6:7], v[6:7], v[22:23], v[6:7]
	v_fma_f64 v[22:23], -v[20:21], v[20:21], v[4:5]
	v_fma_f64 v[20:21], v[22:23], v[6:7], v[20:21]
	v_fma_f64 v[22:23], -v[20:21], v[20:21], v[4:5]
	v_fma_f64 v[6:7], v[22:23], v[6:7], v[20:21]
	v_mov_b32_e32 v20, 0xffffff80
	v_mov_b32_e32 v21, 0x260
	v_cndmask_b32_e32 v20, 0, v20, vcc
	v_cmp_class_f64_e32 vcc, v[4:5], v21
	v_ldexp_f64 v[6:7], v[6:7], v20
	v_cndmask_b32_e32 v5, v7, v5, vcc
	v_cndmask_b32_e32 v4, v6, v4, vcc
	v_mul_f64 v[20:21], v[12:13], v[4:5]
.LBB3_16:
	s_or_b64 exec, exec, s[2:3]
	global_load_dwordx4 v[4:7], v[16:17], off
                                        ; implicit-def: $vgpr26_vgpr27
	s_waitcnt vmcnt(0)
	v_cmp_gt_f64_e32 vcc, 0, v[4:5]
	v_xor_b32_e32 v23, 0x80000000, v5
	v_xor_b32_e32 v24, 0x80000000, v7
	v_mov_b32_e32 v22, v4
	v_cndmask_b32_e32 v23, v5, v23, vcc
	v_cmp_gt_f64_e32 vcc, 0, v[6:7]
	v_cndmask_b32_e32 v25, v7, v24, vcc
	v_mov_b32_e32 v24, v6
	v_cmp_ngt_f64_e32 vcc, v[22:23], v[24:25]
	s_and_saveexec_b64 s[2:3], vcc
	s_xor_b64 s[2:3], exec, s[2:3]
	s_cbranch_execz .LBB3_20
; %bb.17:
	v_cmp_neq_f64_e32 vcc, 0, v[6:7]
	v_mov_b32_e32 v26, 0
	v_mov_b32_e32 v27, 0
	s_and_saveexec_b64 s[4:5], vcc
	s_cbranch_execz .LBB3_19
; %bb.18:
	v_div_scale_f64 v[26:27], s[6:7], v[24:25], v[24:25], v[22:23]
	s_mov_b32 s6, 0
	s_brev_b32 s7, 8
	v_rcp_f64_e32 v[28:29], v[26:27]
	v_fma_f64 v[30:31], -v[26:27], v[28:29], 1.0
	v_fma_f64 v[28:29], v[28:29], v[30:31], v[28:29]
	v_div_scale_f64 v[30:31], vcc, v[22:23], v[24:25], v[22:23]
	v_fma_f64 v[32:33], -v[26:27], v[28:29], 1.0
	v_fma_f64 v[28:29], v[28:29], v[32:33], v[28:29]
	v_mul_f64 v[32:33], v[30:31], v[28:29]
	v_fma_f64 v[26:27], -v[26:27], v[32:33], v[30:31]
	v_div_fmas_f64 v[26:27], v[26:27], v[28:29], v[32:33]
	v_div_fixup_f64 v[22:23], v[26:27], v[24:25], v[22:23]
	v_mov_b32_e32 v26, 0x100
	v_fma_f64 v[22:23], v[22:23], v[22:23], 1.0
	v_cmp_gt_f64_e32 vcc, s[6:7], v[22:23]
	v_cndmask_b32_e32 v26, 0, v26, vcc
	v_ldexp_f64 v[22:23], v[22:23], v26
	v_rsq_f64_e32 v[26:27], v[22:23]
	v_mul_f64 v[28:29], v[22:23], v[26:27]
	v_mul_f64 v[26:27], v[26:27], 0.5
	v_fma_f64 v[30:31], -v[26:27], v[28:29], 0.5
	v_fma_f64 v[28:29], v[28:29], v[30:31], v[28:29]
	v_fma_f64 v[26:27], v[26:27], v[30:31], v[26:27]
	v_fma_f64 v[30:31], -v[28:29], v[28:29], v[22:23]
	v_fma_f64 v[28:29], v[30:31], v[26:27], v[28:29]
	v_fma_f64 v[30:31], -v[28:29], v[28:29], v[22:23]
	v_fma_f64 v[26:27], v[30:31], v[26:27], v[28:29]
	v_mov_b32_e32 v28, 0xffffff80
	v_mov_b32_e32 v29, 0x260
	v_cndmask_b32_e32 v28, 0, v28, vcc
	v_cmp_class_f64_e32 vcc, v[22:23], v29
	v_ldexp_f64 v[26:27], v[26:27], v28
	v_cndmask_b32_e32 v23, v27, v23, vcc
	v_cndmask_b32_e32 v22, v26, v22, vcc
	v_mul_f64 v[26:27], v[24:25], v[22:23]
.LBB3_19:
	s_or_b64 exec, exec, s[4:5]
                                        ; implicit-def: $vgpr22_vgpr23
                                        ; implicit-def: $vgpr24_vgpr25
.LBB3_20:
	s_andn2_saveexec_b64 s[2:3], s[2:3]
	s_cbranch_execz .LBB3_22
; %bb.21:
	v_div_scale_f64 v[26:27], s[4:5], v[22:23], v[22:23], v[24:25]
	s_mov_b32 s4, 0
	s_brev_b32 s5, 8
	v_rcp_f64_e32 v[28:29], v[26:27]
	v_fma_f64 v[30:31], -v[26:27], v[28:29], 1.0
	v_fma_f64 v[28:29], v[28:29], v[30:31], v[28:29]
	v_div_scale_f64 v[30:31], vcc, v[24:25], v[22:23], v[24:25]
	v_fma_f64 v[32:33], -v[26:27], v[28:29], 1.0
	v_fma_f64 v[28:29], v[28:29], v[32:33], v[28:29]
	v_mul_f64 v[32:33], v[30:31], v[28:29]
	v_fma_f64 v[26:27], -v[26:27], v[32:33], v[30:31]
	v_div_fmas_f64 v[26:27], v[26:27], v[28:29], v[32:33]
	v_div_fixup_f64 v[24:25], v[26:27], v[22:23], v[24:25]
	v_mov_b32_e32 v26, 0x100
	v_fma_f64 v[24:25], v[24:25], v[24:25], 1.0
	v_cmp_gt_f64_e32 vcc, s[4:5], v[24:25]
	v_cndmask_b32_e32 v26, 0, v26, vcc
	v_ldexp_f64 v[24:25], v[24:25], v26
	v_rsq_f64_e32 v[26:27], v[24:25]
	v_mul_f64 v[28:29], v[24:25], v[26:27]
	v_mul_f64 v[26:27], v[26:27], 0.5
	v_fma_f64 v[30:31], -v[26:27], v[28:29], 0.5
	v_fma_f64 v[28:29], v[28:29], v[30:31], v[28:29]
	v_fma_f64 v[26:27], v[26:27], v[30:31], v[26:27]
	v_fma_f64 v[30:31], -v[28:29], v[28:29], v[24:25]
	v_fma_f64 v[28:29], v[30:31], v[26:27], v[28:29]
	v_fma_f64 v[30:31], -v[28:29], v[28:29], v[24:25]
	v_fma_f64 v[26:27], v[30:31], v[26:27], v[28:29]
	v_mov_b32_e32 v28, 0xffffff80
	v_mov_b32_e32 v29, 0x260
	v_cndmask_b32_e32 v28, 0, v28, vcc
	v_cmp_class_f64_e32 vcc, v[24:25], v29
	v_ldexp_f64 v[26:27], v[26:27], v28
	v_cndmask_b32_e32 v25, v27, v25, vcc
	v_cndmask_b32_e32 v24, v26, v24, vcc
	v_mul_f64 v[26:27], v[22:23], v[24:25]
.LBB3_22:
	s_or_b64 exec, exec, s[2:3]
	v_add_f64 v[20:21], v[20:21], v[26:27]
                                        ; implicit-def: $vgpr24_vgpr25
                                        ; implicit-def: $vgpr28_vgpr29
	v_cmp_nlg_f64_e64 s[2:3], 0, v[20:21]
	s_and_saveexec_b64 s[4:5], s[2:3]
	s_xor_b64 s[4:5], exec, s[4:5]
	s_cbranch_execz .LBB3_24
; %bb.23:
	v_div_scale_f64 v[22:23], s[6:7], 0, 0, v[20:21]
	v_rcp_f64_e32 v[24:25], v[22:23]
	v_fma_f64 v[26:27], -v[22:23], v[24:25], 1.0
	v_fma_f64 v[24:25], v[24:25], v[26:27], v[24:25]
	v_div_scale_f64 v[26:27], vcc, v[20:21], 0, v[20:21]
	v_fma_f64 v[28:29], -v[22:23], v[24:25], 1.0
	v_fma_f64 v[24:25], v[24:25], v[28:29], v[24:25]
	v_mul_f64 v[28:29], v[26:27], v[24:25]
	v_fma_f64 v[22:23], -v[22:23], v[28:29], v[26:27]
	v_div_fmas_f64 v[22:23], v[22:23], v[24:25], v[28:29]
	v_div_fixup_f64 v[22:23], v[22:23], 0, v[20:21]
	v_fma_f64 v[24:25], v[20:21], v[22:23], 0
	v_div_scale_f64 v[26:27], s[6:7], v[24:25], v[24:25], 1.0
	v_rcp_f64_e32 v[28:29], v[26:27]
	v_fma_f64 v[30:31], -v[26:27], v[28:29], 1.0
	v_fma_f64 v[28:29], v[28:29], v[30:31], v[28:29]
	v_div_scale_f64 v[30:31], vcc, 1.0, v[24:25], 1.0
	v_fma_f64 v[32:33], -v[26:27], v[28:29], 1.0
	v_fma_f64 v[28:29], v[28:29], v[32:33], v[28:29]
	v_mul_f64 v[32:33], v[30:31], v[28:29]
	v_fma_f64 v[26:27], -v[26:27], v[32:33], v[30:31]
	v_div_fmas_f64 v[26:27], v[26:27], v[28:29], v[32:33]
	v_fma_f64 v[28:29], v[0:1], v[22:23], v[2:3]
	v_fma_f64 v[22:23], v[2:3], v[22:23], -v[0:1]
	v_div_fixup_f64 v[26:27], v[26:27], v[24:25], 1.0
	v_mul_f64 v[24:25], v[28:29], v[26:27]
	v_mul_f64 v[28:29], v[22:23], v[26:27]
.LBB3_24:
	s_andn2_saveexec_b64 s[4:5], s[4:5]
	s_cbranch_execz .LBB3_26
; %bb.25:
	v_div_scale_f64 v[22:23], s[6:7], v[20:21], v[20:21], 0
	v_rcp_f64_e32 v[24:25], v[22:23]
	v_fma_f64 v[26:27], -v[22:23], v[24:25], 1.0
	v_fma_f64 v[24:25], v[24:25], v[26:27], v[24:25]
	v_div_scale_f64 v[26:27], vcc, 0, v[20:21], 0
	v_fma_f64 v[28:29], -v[22:23], v[24:25], 1.0
	v_fma_f64 v[24:25], v[24:25], v[28:29], v[24:25]
	v_mul_f64 v[28:29], v[26:27], v[24:25]
	v_fma_f64 v[22:23], -v[22:23], v[28:29], v[26:27]
	v_div_fmas_f64 v[22:23], v[22:23], v[24:25], v[28:29]
	v_div_fixup_f64 v[22:23], v[22:23], v[20:21], 0
	v_fma_f64 v[24:25], v[22:23], 0, v[20:21]
	v_div_scale_f64 v[26:27], s[6:7], v[24:25], v[24:25], 1.0
	v_rcp_f64_e32 v[28:29], v[26:27]
	v_fma_f64 v[30:31], -v[26:27], v[28:29], 1.0
	v_fma_f64 v[28:29], v[28:29], v[30:31], v[28:29]
	v_div_scale_f64 v[30:31], vcc, 1.0, v[24:25], 1.0
	v_fma_f64 v[32:33], -v[26:27], v[28:29], 1.0
	v_fma_f64 v[28:29], v[28:29], v[32:33], v[28:29]
	v_mul_f64 v[32:33], v[30:31], v[28:29]
	v_fma_f64 v[26:27], -v[26:27], v[32:33], v[30:31]
	v_div_fmas_f64 v[26:27], v[26:27], v[28:29], v[32:33]
	v_fma_f64 v[28:29], v[2:3], v[22:23], v[0:1]
	v_fma_f64 v[22:23], -v[0:1], v[22:23], v[2:3]
	v_div_fixup_f64 v[26:27], v[26:27], v[24:25], 1.0
	v_mul_f64 v[24:25], v[28:29], v[26:27]
	v_mul_f64 v[28:29], v[22:23], v[26:27]
.LBB3_26:
	s_or_b64 exec, exec, s[4:5]
	v_cmp_gt_f64_e32 vcc, 0, v[24:25]
	v_xor_b32_e32 v22, 0x80000000, v25
	v_mov_b32_e32 v26, v28
	v_cndmask_b32_e32 v25, v25, v22, vcc
	v_cmp_gt_f64_e32 vcc, 0, v[28:29]
	v_xor_b32_e32 v22, 0x80000000, v29
	v_cndmask_b32_e32 v27, v29, v22, vcc
	v_cmp_ngt_f64_e32 vcc, v[24:25], v[26:27]
                                        ; implicit-def: $vgpr22_vgpr23
	s_and_saveexec_b64 s[4:5], vcc
	s_xor_b64 s[4:5], exec, s[4:5]
	s_cbranch_execz .LBB3_30
; %bb.27:
	v_cmp_neq_f64_e32 vcc, 0, v[28:29]
	v_mov_b32_e32 v22, 0
	v_mov_b32_e32 v23, 0
	s_and_saveexec_b64 s[6:7], vcc
	s_cbranch_execz .LBB3_29
; %bb.28:
	v_div_scale_f64 v[22:23], s[8:9], v[26:27], v[26:27], v[24:25]
	s_mov_b32 s8, 0
	s_brev_b32 s9, 8
	v_rcp_f64_e32 v[28:29], v[22:23]
	v_fma_f64 v[30:31], -v[22:23], v[28:29], 1.0
	v_fma_f64 v[28:29], v[28:29], v[30:31], v[28:29]
	v_div_scale_f64 v[30:31], vcc, v[24:25], v[26:27], v[24:25]
	v_fma_f64 v[32:33], -v[22:23], v[28:29], 1.0
	v_fma_f64 v[28:29], v[28:29], v[32:33], v[28:29]
	v_mul_f64 v[32:33], v[30:31], v[28:29]
	v_fma_f64 v[22:23], -v[22:23], v[32:33], v[30:31]
	v_div_fmas_f64 v[22:23], v[22:23], v[28:29], v[32:33]
	v_div_fixup_f64 v[22:23], v[22:23], v[26:27], v[24:25]
	v_mov_b32_e32 v24, 0x100
	v_fma_f64 v[22:23], v[22:23], v[22:23], 1.0
	v_cmp_gt_f64_e32 vcc, s[8:9], v[22:23]
	v_cndmask_b32_e32 v24, 0, v24, vcc
	v_ldexp_f64 v[22:23], v[22:23], v24
	v_rsq_f64_e32 v[24:25], v[22:23]
	v_mul_f64 v[28:29], v[22:23], v[24:25]
	v_mul_f64 v[24:25], v[24:25], 0.5
	v_fma_f64 v[30:31], -v[24:25], v[28:29], 0.5
	v_fma_f64 v[28:29], v[28:29], v[30:31], v[28:29]
	v_fma_f64 v[24:25], v[24:25], v[30:31], v[24:25]
	v_fma_f64 v[30:31], -v[28:29], v[28:29], v[22:23]
	v_fma_f64 v[28:29], v[30:31], v[24:25], v[28:29]
	v_fma_f64 v[30:31], -v[28:29], v[28:29], v[22:23]
	v_fma_f64 v[24:25], v[30:31], v[24:25], v[28:29]
	v_mov_b32_e32 v28, 0xffffff80
	v_mov_b32_e32 v29, 0x260
	v_cndmask_b32_e32 v28, 0, v28, vcc
	v_cmp_class_f64_e32 vcc, v[22:23], v29
	v_ldexp_f64 v[24:25], v[24:25], v28
	v_cndmask_b32_e32 v23, v25, v23, vcc
	v_cndmask_b32_e32 v22, v24, v22, vcc
	v_mul_f64 v[22:23], v[26:27], v[22:23]
.LBB3_29:
	s_or_b64 exec, exec, s[6:7]
                                        ; implicit-def: $vgpr24_vgpr25
                                        ; implicit-def: $vgpr26_vgpr27
	s_andn2_saveexec_b64 s[4:5], s[4:5]
	s_cbranch_execz .LBB3_32
	s_branch .LBB3_31
.LBB3_30:
	s_andn2_saveexec_b64 s[4:5], s[4:5]
	s_cbranch_execz .LBB3_32
.LBB3_31:
	v_div_scale_f64 v[22:23], s[6:7], v[24:25], v[24:25], v[26:27]
	s_mov_b32 s6, 0
	s_brev_b32 s7, 8
	v_rcp_f64_e32 v[28:29], v[22:23]
	v_fma_f64 v[30:31], -v[22:23], v[28:29], 1.0
	v_fma_f64 v[28:29], v[28:29], v[30:31], v[28:29]
	v_div_scale_f64 v[30:31], vcc, v[26:27], v[24:25], v[26:27]
	v_fma_f64 v[32:33], -v[22:23], v[28:29], 1.0
	v_fma_f64 v[28:29], v[28:29], v[32:33], v[28:29]
	v_mul_f64 v[32:33], v[30:31], v[28:29]
	v_fma_f64 v[22:23], -v[22:23], v[32:33], v[30:31]
	v_div_fmas_f64 v[22:23], v[22:23], v[28:29], v[32:33]
	v_div_fixup_f64 v[22:23], v[22:23], v[24:25], v[26:27]
	v_mov_b32_e32 v26, 0x100
	v_fma_f64 v[22:23], v[22:23], v[22:23], 1.0
	v_cmp_gt_f64_e32 vcc, s[6:7], v[22:23]
	v_cndmask_b32_e32 v26, 0, v26, vcc
	v_ldexp_f64 v[22:23], v[22:23], v26
	v_rsq_f64_e32 v[26:27], v[22:23]
	v_mul_f64 v[28:29], v[22:23], v[26:27]
	v_mul_f64 v[26:27], v[26:27], 0.5
	v_fma_f64 v[30:31], -v[26:27], v[28:29], 0.5
	v_fma_f64 v[28:29], v[28:29], v[30:31], v[28:29]
	v_fma_f64 v[26:27], v[26:27], v[30:31], v[26:27]
	v_fma_f64 v[30:31], -v[28:29], v[28:29], v[22:23]
	v_fma_f64 v[28:29], v[30:31], v[26:27], v[28:29]
	v_fma_f64 v[30:31], -v[28:29], v[28:29], v[22:23]
	v_fma_f64 v[26:27], v[30:31], v[26:27], v[28:29]
	v_mov_b32_e32 v28, 0xffffff80
	v_mov_b32_e32 v29, 0x260
	v_cndmask_b32_e32 v28, 0, v28, vcc
	v_cmp_class_f64_e32 vcc, v[22:23], v29
	v_ldexp_f64 v[26:27], v[26:27], v28
	v_cndmask_b32_e32 v23, v27, v23, vcc
	v_cndmask_b32_e32 v22, v26, v22, vcc
	v_mul_f64 v[22:23], v[24:25], v[22:23]
.LBB3_32:
	s_or_b64 exec, exec, s[4:5]
                                        ; implicit-def: $vgpr24_vgpr25
                                        ; implicit-def: $vgpr26_vgpr27
	s_and_saveexec_b64 s[4:5], s[2:3]
	s_xor_b64 s[2:3], exec, s[4:5]
	s_cbranch_execz .LBB3_34
; %bb.33:
	v_div_scale_f64 v[24:25], s[4:5], 0, 0, v[20:21]
	v_rcp_f64_e32 v[26:27], v[24:25]
	v_fma_f64 v[28:29], -v[24:25], v[26:27], 1.0
	v_fma_f64 v[26:27], v[26:27], v[28:29], v[26:27]
	v_div_scale_f64 v[28:29], vcc, v[20:21], 0, v[20:21]
	v_fma_f64 v[30:31], -v[24:25], v[26:27], 1.0
	v_fma_f64 v[26:27], v[26:27], v[30:31], v[26:27]
	v_mul_f64 v[30:31], v[28:29], v[26:27]
	v_fma_f64 v[24:25], -v[24:25], v[30:31], v[28:29]
	v_div_fmas_f64 v[24:25], v[24:25], v[26:27], v[30:31]
	v_div_fixup_f64 v[24:25], v[24:25], 0, v[20:21]
	v_fma_f64 v[26:27], v[20:21], v[24:25], 0
	v_div_scale_f64 v[28:29], s[4:5], v[26:27], v[26:27], 1.0
	v_rcp_f64_e32 v[30:31], v[28:29]
	v_fma_f64 v[32:33], -v[28:29], v[30:31], 1.0
	v_fma_f64 v[30:31], v[30:31], v[32:33], v[30:31]
	v_div_scale_f64 v[32:33], vcc, 1.0, v[26:27], 1.0
	v_fma_f64 v[34:35], -v[28:29], v[30:31], 1.0
	v_fma_f64 v[30:31], v[30:31], v[34:35], v[30:31]
	v_mul_f64 v[34:35], v[32:33], v[30:31]
	v_fma_f64 v[28:29], -v[28:29], v[34:35], v[32:33]
	v_div_fmas_f64 v[28:29], v[28:29], v[30:31], v[34:35]
	v_fma_f64 v[30:31], v[4:5], v[24:25], v[6:7]
	v_fma_f64 v[4:5], v[6:7], v[24:25], -v[4:5]
	v_div_fixup_f64 v[26:27], v[28:29], v[26:27], 1.0
	v_mul_f64 v[24:25], v[30:31], v[26:27]
	v_mul_f64 v[26:27], v[4:5], v[26:27]
                                        ; implicit-def: $vgpr6_vgpr7
	s_andn2_saveexec_b64 s[2:3], s[2:3]
	s_cbranch_execnz .LBB3_35
	s_branch .LBB3_36
.LBB3_34:
	s_andn2_saveexec_b64 s[2:3], s[2:3]
	s_cbranch_execz .LBB3_36
.LBB3_35:
	v_div_scale_f64 v[24:25], s[4:5], v[20:21], v[20:21], 0
	v_rcp_f64_e32 v[26:27], v[24:25]
	v_fma_f64 v[28:29], -v[24:25], v[26:27], 1.0
	v_fma_f64 v[26:27], v[26:27], v[28:29], v[26:27]
	v_div_scale_f64 v[28:29], vcc, 0, v[20:21], 0
	v_fma_f64 v[30:31], -v[24:25], v[26:27], 1.0
	v_fma_f64 v[26:27], v[26:27], v[30:31], v[26:27]
	v_mul_f64 v[30:31], v[28:29], v[26:27]
	v_fma_f64 v[24:25], -v[24:25], v[30:31], v[28:29]
	v_div_fmas_f64 v[24:25], v[24:25], v[26:27], v[30:31]
	v_div_fixup_f64 v[24:25], v[24:25], v[20:21], 0
	v_fma_f64 v[26:27], v[24:25], 0, v[20:21]
	v_div_scale_f64 v[28:29], s[4:5], v[26:27], v[26:27], 1.0
	v_rcp_f64_e32 v[30:31], v[28:29]
	v_fma_f64 v[32:33], -v[28:29], v[30:31], 1.0
	v_fma_f64 v[30:31], v[30:31], v[32:33], v[30:31]
	v_div_scale_f64 v[32:33], vcc, 1.0, v[26:27], 1.0
	v_fma_f64 v[34:35], -v[28:29], v[30:31], 1.0
	v_fma_f64 v[30:31], v[30:31], v[34:35], v[30:31]
	v_mul_f64 v[34:35], v[32:33], v[30:31]
	v_fma_f64 v[28:29], -v[28:29], v[34:35], v[32:33]
	v_div_fmas_f64 v[28:29], v[28:29], v[30:31], v[34:35]
	v_fma_f64 v[30:31], v[6:7], v[24:25], v[4:5]
	v_fma_f64 v[4:5], -v[4:5], v[24:25], v[6:7]
	v_div_fixup_f64 v[26:27], v[28:29], v[26:27], 1.0
	v_mul_f64 v[24:25], v[30:31], v[26:27]
	v_mul_f64 v[26:27], v[4:5], v[26:27]
.LBB3_36:
	s_or_b64 exec, exec, s[2:3]
	v_cmp_gt_f64_e32 vcc, 0, v[24:25]
	v_xor_b32_e32 v4, 0x80000000, v25
	v_mov_b32_e32 v6, v26
	v_cndmask_b32_e32 v25, v25, v4, vcc
	v_cmp_gt_f64_e32 vcc, 0, v[26:27]
	v_xor_b32_e32 v4, 0x80000000, v27
	v_cndmask_b32_e32 v7, v27, v4, vcc
	v_cmp_ngt_f64_e32 vcc, v[24:25], v[6:7]
                                        ; implicit-def: $vgpr4_vgpr5
	s_and_saveexec_b64 s[2:3], vcc
	s_xor_b64 s[2:3], exec, s[2:3]
	s_cbranch_execz .LBB3_40
; %bb.37:
	v_cmp_neq_f64_e32 vcc, 0, v[26:27]
	v_mov_b32_e32 v4, 0
	v_mov_b32_e32 v5, 0
	s_and_saveexec_b64 s[4:5], vcc
	s_cbranch_execz .LBB3_39
; %bb.38:
	v_div_scale_f64 v[4:5], s[6:7], v[6:7], v[6:7], v[24:25]
	s_mov_b32 s6, 0
	s_brev_b32 s7, 8
	v_rcp_f64_e32 v[26:27], v[4:5]
	v_fma_f64 v[28:29], -v[4:5], v[26:27], 1.0
	v_fma_f64 v[26:27], v[26:27], v[28:29], v[26:27]
	v_div_scale_f64 v[28:29], vcc, v[24:25], v[6:7], v[24:25]
	v_fma_f64 v[30:31], -v[4:5], v[26:27], 1.0
	v_fma_f64 v[26:27], v[26:27], v[30:31], v[26:27]
	v_mul_f64 v[30:31], v[28:29], v[26:27]
	v_fma_f64 v[4:5], -v[4:5], v[30:31], v[28:29]
	v_div_fmas_f64 v[4:5], v[4:5], v[26:27], v[30:31]
	v_div_fixup_f64 v[4:5], v[4:5], v[6:7], v[24:25]
	v_mov_b32_e32 v24, 0x100
	v_fma_f64 v[4:5], v[4:5], v[4:5], 1.0
	v_cmp_gt_f64_e32 vcc, s[6:7], v[4:5]
	v_cndmask_b32_e32 v24, 0, v24, vcc
	v_ldexp_f64 v[4:5], v[4:5], v24
	v_rsq_f64_e32 v[24:25], v[4:5]
	v_mul_f64 v[26:27], v[4:5], v[24:25]
	v_mul_f64 v[24:25], v[24:25], 0.5
	v_fma_f64 v[28:29], -v[24:25], v[26:27], 0.5
	v_fma_f64 v[26:27], v[26:27], v[28:29], v[26:27]
	v_fma_f64 v[24:25], v[24:25], v[28:29], v[24:25]
	v_fma_f64 v[28:29], -v[26:27], v[26:27], v[4:5]
	v_fma_f64 v[26:27], v[28:29], v[24:25], v[26:27]
	v_fma_f64 v[28:29], -v[26:27], v[26:27], v[4:5]
	v_fma_f64 v[24:25], v[28:29], v[24:25], v[26:27]
	v_mov_b32_e32 v26, 0xffffff80
	v_mov_b32_e32 v27, 0x260
	v_cndmask_b32_e32 v26, 0, v26, vcc
	v_cmp_class_f64_e32 vcc, v[4:5], v27
	v_ldexp_f64 v[24:25], v[24:25], v26
	v_cndmask_b32_e32 v5, v25, v5, vcc
	v_cndmask_b32_e32 v4, v24, v4, vcc
	v_mul_f64 v[4:5], v[6:7], v[4:5]
.LBB3_39:
	s_or_b64 exec, exec, s[4:5]
                                        ; implicit-def: $vgpr24_vgpr25
                                        ; implicit-def: $vgpr6_vgpr7
	s_andn2_saveexec_b64 s[2:3], s[2:3]
	s_cbranch_execz .LBB3_42
	s_branch .LBB3_41
.LBB3_40:
	s_andn2_saveexec_b64 s[2:3], s[2:3]
	s_cbranch_execz .LBB3_42
.LBB3_41:
	v_div_scale_f64 v[4:5], s[4:5], v[24:25], v[24:25], v[6:7]
	s_mov_b32 s4, 0
	s_brev_b32 s5, 8
	v_rcp_f64_e32 v[26:27], v[4:5]
	v_fma_f64 v[28:29], -v[4:5], v[26:27], 1.0
	v_fma_f64 v[26:27], v[26:27], v[28:29], v[26:27]
	v_div_scale_f64 v[28:29], vcc, v[6:7], v[24:25], v[6:7]
	v_fma_f64 v[30:31], -v[4:5], v[26:27], 1.0
	v_fma_f64 v[26:27], v[26:27], v[30:31], v[26:27]
	v_mul_f64 v[30:31], v[28:29], v[26:27]
	v_fma_f64 v[4:5], -v[4:5], v[30:31], v[28:29]
	v_div_fmas_f64 v[4:5], v[4:5], v[26:27], v[30:31]
	v_div_fixup_f64 v[4:5], v[4:5], v[24:25], v[6:7]
	v_mov_b32_e32 v6, 0x100
	v_fma_f64 v[4:5], v[4:5], v[4:5], 1.0
	v_cmp_gt_f64_e32 vcc, s[4:5], v[4:5]
	v_cndmask_b32_e32 v6, 0, v6, vcc
	v_ldexp_f64 v[4:5], v[4:5], v6
	v_rsq_f64_e32 v[6:7], v[4:5]
	v_mul_f64 v[26:27], v[4:5], v[6:7]
	v_mul_f64 v[6:7], v[6:7], 0.5
	v_fma_f64 v[28:29], -v[6:7], v[26:27], 0.5
	v_fma_f64 v[26:27], v[26:27], v[28:29], v[26:27]
	v_fma_f64 v[6:7], v[6:7], v[28:29], v[6:7]
	v_fma_f64 v[28:29], -v[26:27], v[26:27], v[4:5]
	v_fma_f64 v[26:27], v[28:29], v[6:7], v[26:27]
	v_fma_f64 v[28:29], -v[26:27], v[26:27], v[4:5]
	v_fma_f64 v[6:7], v[28:29], v[6:7], v[26:27]
	v_mov_b32_e32 v26, 0xffffff80
	v_mov_b32_e32 v27, 0x260
	v_cndmask_b32_e32 v26, 0, v26, vcc
	v_cmp_class_f64_e32 vcc, v[4:5], v27
	v_ldexp_f64 v[6:7], v[6:7], v26
	v_cndmask_b32_e32 v5, v7, v5, vcc
	v_cndmask_b32_e32 v4, v6, v4, vcc
	v_mul_f64 v[4:5], v[24:25], v[4:5]
.LBB3_42:
	s_or_b64 exec, exec, s[2:3]
                                        ; implicit-def: $vgpr26_vgpr27
	s_and_saveexec_b64 s[2:3], s[0:1]
	s_xor_b64 s[2:3], exec, s[2:3]
	s_cbranch_execz .LBB3_46
; %bb.43:
	v_cmp_neq_f64_e32 vcc, 0, v[2:3]
	v_mov_b32_e32 v26, 0
	v_mov_b32_e32 v27, 0
	s_and_saveexec_b64 s[4:5], vcc
	s_cbranch_execz .LBB3_45
; %bb.44:
	v_div_scale_f64 v[6:7], s[6:7], v[14:15], v[14:15], v[12:13]
	s_mov_b32 s6, 0
	s_brev_b32 s7, 8
	v_rcp_f64_e32 v[24:25], v[6:7]
	v_fma_f64 v[26:27], -v[6:7], v[24:25], 1.0
	v_fma_f64 v[24:25], v[24:25], v[26:27], v[24:25]
	v_div_scale_f64 v[26:27], vcc, v[12:13], v[14:15], v[12:13]
	v_fma_f64 v[28:29], -v[6:7], v[24:25], 1.0
	v_fma_f64 v[24:25], v[24:25], v[28:29], v[24:25]
	v_mul_f64 v[28:29], v[26:27], v[24:25]
	v_fma_f64 v[6:7], -v[6:7], v[28:29], v[26:27]
	v_div_fmas_f64 v[6:7], v[6:7], v[24:25], v[28:29]
	v_mov_b32_e32 v24, 0x100
	v_div_fixup_f64 v[6:7], v[6:7], v[14:15], v[12:13]
	v_fma_f64 v[6:7], v[6:7], v[6:7], 1.0
	v_cmp_gt_f64_e32 vcc, s[6:7], v[6:7]
	v_cndmask_b32_e32 v24, 0, v24, vcc
	v_ldexp_f64 v[6:7], v[6:7], v24
	v_rsq_f64_e32 v[24:25], v[6:7]
	v_mul_f64 v[26:27], v[6:7], v[24:25]
	v_mul_f64 v[24:25], v[24:25], 0.5
	v_fma_f64 v[28:29], -v[24:25], v[26:27], 0.5
	v_fma_f64 v[26:27], v[26:27], v[28:29], v[26:27]
	v_fma_f64 v[24:25], v[24:25], v[28:29], v[24:25]
	v_fma_f64 v[28:29], -v[26:27], v[26:27], v[6:7]
	v_fma_f64 v[26:27], v[28:29], v[24:25], v[26:27]
	v_fma_f64 v[28:29], -v[26:27], v[26:27], v[6:7]
	v_fma_f64 v[24:25], v[28:29], v[24:25], v[26:27]
	v_mov_b32_e32 v26, 0xffffff80
	v_mov_b32_e32 v27, 0x260
	v_cndmask_b32_e32 v26, 0, v26, vcc
	v_cmp_class_f64_e32 vcc, v[6:7], v27
	v_ldexp_f64 v[24:25], v[24:25], v26
	v_cndmask_b32_e32 v7, v25, v7, vcc
	v_cndmask_b32_e32 v6, v24, v6, vcc
	v_mul_f64 v[26:27], v[14:15], v[6:7]
.LBB3_45:
	s_or_b64 exec, exec, s[4:5]
	s_andn2_saveexec_b64 s[2:3], s[2:3]
	s_cbranch_execnz .LBB3_47
	s_branch .LBB3_48
.LBB3_46:
	s_andn2_saveexec_b64 s[2:3], s[2:3]
	s_cbranch_execz .LBB3_48
.LBB3_47:
	v_div_scale_f64 v[6:7], s[4:5], v[12:13], v[12:13], v[14:15]
	s_mov_b32 s4, 0
	s_brev_b32 s5, 8
	v_rcp_f64_e32 v[24:25], v[6:7]
	v_fma_f64 v[26:27], -v[6:7], v[24:25], 1.0
	v_fma_f64 v[24:25], v[24:25], v[26:27], v[24:25]
	v_div_scale_f64 v[26:27], vcc, v[14:15], v[12:13], v[14:15]
	v_fma_f64 v[28:29], -v[6:7], v[24:25], 1.0
	v_fma_f64 v[24:25], v[24:25], v[28:29], v[24:25]
	v_mul_f64 v[28:29], v[26:27], v[24:25]
	v_fma_f64 v[6:7], -v[6:7], v[28:29], v[26:27]
	v_div_fmas_f64 v[6:7], v[6:7], v[24:25], v[28:29]
	v_mov_b32_e32 v24, 0x100
	v_div_fixup_f64 v[6:7], v[6:7], v[12:13], v[14:15]
	v_fma_f64 v[6:7], v[6:7], v[6:7], 1.0
	v_cmp_gt_f64_e32 vcc, s[4:5], v[6:7]
	v_cndmask_b32_e32 v24, 0, v24, vcc
	v_ldexp_f64 v[6:7], v[6:7], v24
	v_rsq_f64_e32 v[24:25], v[6:7]
	v_mul_f64 v[26:27], v[6:7], v[24:25]
	v_mul_f64 v[24:25], v[24:25], 0.5
	v_fma_f64 v[28:29], -v[24:25], v[26:27], 0.5
	v_fma_f64 v[26:27], v[26:27], v[28:29], v[26:27]
	v_fma_f64 v[24:25], v[24:25], v[28:29], v[24:25]
	v_fma_f64 v[28:29], -v[26:27], v[26:27], v[6:7]
	v_fma_f64 v[26:27], v[28:29], v[24:25], v[26:27]
	v_fma_f64 v[28:29], -v[26:27], v[26:27], v[6:7]
	v_fma_f64 v[24:25], v[28:29], v[24:25], v[26:27]
	v_mov_b32_e32 v26, 0xffffff80
	v_mov_b32_e32 v27, 0x260
	v_cndmask_b32_e32 v26, 0, v26, vcc
	v_cmp_class_f64_e32 vcc, v[6:7], v27
	v_ldexp_f64 v[24:25], v[24:25], v26
	v_cndmask_b32_e32 v7, v25, v7, vcc
	v_cndmask_b32_e32 v6, v24, v6, vcc
	v_mul_f64 v[26:27], v[12:13], v[6:7]
.LBB3_48:
	s_or_b64 exec, exec, s[2:3]
	v_cmp_lg_f64_e32 vcc, 0, v[26:27]
                                        ; implicit-def: $vgpr6_vgpr7
                                        ; implicit-def: $vgpr24_vgpr25
	s_and_saveexec_b64 s[2:3], vcc
	s_xor_b64 s[2:3], exec, s[2:3]
	s_cbranch_execz .LBB3_50
; %bb.49:
	v_div_scale_f64 v[6:7], s[4:5], v[26:27], v[26:27], 0
	v_rcp_f64_e32 v[24:25], v[6:7]
	v_fma_f64 v[28:29], -v[6:7], v[24:25], 1.0
	v_fma_f64 v[24:25], v[24:25], v[28:29], v[24:25]
	v_div_scale_f64 v[28:29], vcc, 0, v[26:27], 0
	v_fma_f64 v[30:31], -v[6:7], v[24:25], 1.0
	v_fma_f64 v[24:25], v[24:25], v[30:31], v[24:25]
	v_mul_f64 v[30:31], v[28:29], v[24:25]
	v_fma_f64 v[6:7], -v[6:7], v[30:31], v[28:29]
	v_div_fmas_f64 v[6:7], v[6:7], v[24:25], v[30:31]
	v_div_fixup_f64 v[6:7], v[6:7], v[26:27], 0
	v_fma_f64 v[24:25], v[6:7], 0, v[26:27]
	v_div_scale_f64 v[26:27], s[4:5], v[24:25], v[24:25], 1.0
	v_rcp_f64_e32 v[28:29], v[26:27]
	v_fma_f64 v[30:31], -v[26:27], v[28:29], 1.0
	v_fma_f64 v[28:29], v[28:29], v[30:31], v[28:29]
	v_div_scale_f64 v[30:31], vcc, 1.0, v[24:25], 1.0
	v_fma_f64 v[32:33], -v[26:27], v[28:29], 1.0
	v_fma_f64 v[28:29], v[28:29], v[32:33], v[28:29]
	v_mul_f64 v[32:33], v[30:31], v[28:29]
	v_fma_f64 v[26:27], -v[26:27], v[32:33], v[30:31]
	v_div_fmas_f64 v[26:27], v[26:27], v[28:29], v[32:33]
	v_fma_f64 v[28:29], v[2:3], v[6:7], v[0:1]
	v_fma_f64 v[0:1], -v[0:1], v[6:7], v[2:3]
	v_div_fixup_f64 v[24:25], v[26:27], v[24:25], 1.0
                                        ; implicit-def: $vgpr26_vgpr27
	v_mul_f64 v[6:7], v[28:29], v[24:25]
	v_mul_f64 v[24:25], v[0:1], v[24:25]
	s_andn2_saveexec_b64 s[2:3], s[2:3]
	s_cbranch_execz .LBB3_52
	s_branch .LBB3_51
.LBB3_50:
	s_andn2_saveexec_b64 s[2:3], s[2:3]
	s_cbranch_execz .LBB3_52
.LBB3_51:
	v_div_scale_f64 v[6:7], s[4:5], 0, 0, v[26:27]
	v_rcp_f64_e32 v[24:25], v[6:7]
	v_fma_f64 v[28:29], -v[6:7], v[24:25], 1.0
	v_fma_f64 v[24:25], v[24:25], v[28:29], v[24:25]
	v_div_scale_f64 v[28:29], vcc, v[26:27], 0, v[26:27]
	v_fma_f64 v[30:31], -v[6:7], v[24:25], 1.0
	v_fma_f64 v[24:25], v[24:25], v[30:31], v[24:25]
	v_mul_f64 v[30:31], v[28:29], v[24:25]
	v_fma_f64 v[6:7], -v[6:7], v[30:31], v[28:29]
	v_div_fmas_f64 v[6:7], v[6:7], v[24:25], v[30:31]
	v_div_fixup_f64 v[6:7], v[6:7], 0, v[26:27]
	v_fma_f64 v[24:25], v[26:27], v[6:7], 0
	v_div_scale_f64 v[26:27], s[4:5], v[24:25], v[24:25], 1.0
	v_rcp_f64_e32 v[28:29], v[26:27]
	v_fma_f64 v[30:31], -v[26:27], v[28:29], 1.0
	v_fma_f64 v[28:29], v[28:29], v[30:31], v[28:29]
	v_div_scale_f64 v[30:31], vcc, 1.0, v[24:25], 1.0
	v_fma_f64 v[32:33], -v[26:27], v[28:29], 1.0
	v_fma_f64 v[28:29], v[28:29], v[32:33], v[28:29]
	v_mul_f64 v[32:33], v[30:31], v[28:29]
	v_fma_f64 v[26:27], -v[26:27], v[32:33], v[30:31]
	v_div_fmas_f64 v[26:27], v[26:27], v[28:29], v[32:33]
	v_fma_f64 v[28:29], v[0:1], v[6:7], v[2:3]
	v_fma_f64 v[0:1], v[2:3], v[6:7], -v[0:1]
	v_div_fixup_f64 v[24:25], v[26:27], v[24:25], 1.0
	v_mul_f64 v[6:7], v[28:29], v[24:25]
	v_mul_f64 v[24:25], v[0:1], v[24:25]
.LBB3_52:
	s_or_b64 exec, exec, s[2:3]
                                        ; implicit-def: $vgpr0_vgpr1
	s_and_saveexec_b64 s[2:3], s[0:1]
	s_xor_b64 s[0:1], exec, s[2:3]
	s_cbranch_execz .LBB3_56
; %bb.53:
	v_cmp_neq_f64_e32 vcc, 0, v[2:3]
	v_mov_b32_e32 v0, 0
	v_mov_b32_e32 v1, 0
	s_and_saveexec_b64 s[2:3], vcc
	s_cbranch_execz .LBB3_55
; %bb.54:
	v_div_scale_f64 v[0:1], s[4:5], v[14:15], v[14:15], v[12:13]
	s_mov_b32 s4, 0
	s_brev_b32 s5, 8
	v_rcp_f64_e32 v[2:3], v[0:1]
	v_fma_f64 v[26:27], -v[0:1], v[2:3], 1.0
	v_fma_f64 v[2:3], v[2:3], v[26:27], v[2:3]
	v_div_scale_f64 v[26:27], vcc, v[12:13], v[14:15], v[12:13]
	v_fma_f64 v[28:29], -v[0:1], v[2:3], 1.0
	v_fma_f64 v[2:3], v[2:3], v[28:29], v[2:3]
	v_mul_f64 v[28:29], v[26:27], v[2:3]
	v_fma_f64 v[0:1], -v[0:1], v[28:29], v[26:27]
	v_div_fmas_f64 v[0:1], v[0:1], v[2:3], v[28:29]
	v_mov_b32_e32 v2, 0x100
	v_div_fixup_f64 v[0:1], v[0:1], v[14:15], v[12:13]
	v_fma_f64 v[0:1], v[0:1], v[0:1], 1.0
	v_cmp_gt_f64_e32 vcc, s[4:5], v[0:1]
	v_cndmask_b32_e32 v2, 0, v2, vcc
	v_ldexp_f64 v[0:1], v[0:1], v2
	v_rsq_f64_e32 v[2:3], v[0:1]
	v_mul_f64 v[12:13], v[0:1], v[2:3]
	v_mul_f64 v[2:3], v[2:3], 0.5
	v_fma_f64 v[26:27], -v[2:3], v[12:13], 0.5
	v_fma_f64 v[12:13], v[12:13], v[26:27], v[12:13]
	v_fma_f64 v[2:3], v[2:3], v[26:27], v[2:3]
	v_fma_f64 v[26:27], -v[12:13], v[12:13], v[0:1]
	v_fma_f64 v[12:13], v[26:27], v[2:3], v[12:13]
	v_fma_f64 v[26:27], -v[12:13], v[12:13], v[0:1]
	v_fma_f64 v[2:3], v[26:27], v[2:3], v[12:13]
	v_mov_b32_e32 v12, 0xffffff80
	v_mov_b32_e32 v13, 0x260
	v_cndmask_b32_e32 v12, 0, v12, vcc
	v_cmp_class_f64_e32 vcc, v[0:1], v13
	v_ldexp_f64 v[2:3], v[2:3], v12
	v_cndmask_b32_e32 v1, v3, v1, vcc
	v_cndmask_b32_e32 v0, v2, v0, vcc
	v_mul_f64 v[0:1], v[14:15], v[0:1]
.LBB3_55:
	s_or_b64 exec, exec, s[2:3]
                                        ; implicit-def: $vgpr12_vgpr13
                                        ; implicit-def: $vgpr14_vgpr15
	s_andn2_saveexec_b64 s[0:1], s[0:1]
	s_cbranch_execnz .LBB3_57
	s_branch .LBB3_58
.LBB3_56:
	s_andn2_saveexec_b64 s[0:1], s[0:1]
	s_cbranch_execz .LBB3_58
.LBB3_57:
	v_div_scale_f64 v[0:1], s[2:3], v[12:13], v[12:13], v[14:15]
	s_mov_b32 s2, 0
	s_brev_b32 s3, 8
	v_rcp_f64_e32 v[2:3], v[0:1]
	v_fma_f64 v[26:27], -v[0:1], v[2:3], 1.0
	v_fma_f64 v[2:3], v[2:3], v[26:27], v[2:3]
	v_div_scale_f64 v[26:27], vcc, v[14:15], v[12:13], v[14:15]
	v_fma_f64 v[28:29], -v[0:1], v[2:3], 1.0
	v_fma_f64 v[2:3], v[2:3], v[28:29], v[2:3]
	v_mul_f64 v[28:29], v[26:27], v[2:3]
	v_fma_f64 v[0:1], -v[0:1], v[28:29], v[26:27]
	v_div_fmas_f64 v[0:1], v[0:1], v[2:3], v[28:29]
	v_mov_b32_e32 v2, 0x100
	v_div_fixup_f64 v[0:1], v[0:1], v[12:13], v[14:15]
	v_fma_f64 v[0:1], v[0:1], v[0:1], 1.0
	v_cmp_gt_f64_e32 vcc, s[2:3], v[0:1]
	v_cndmask_b32_e32 v2, 0, v2, vcc
	v_ldexp_f64 v[0:1], v[0:1], v2
	v_rsq_f64_e32 v[2:3], v[0:1]
	v_mul_f64 v[14:15], v[0:1], v[2:3]
	v_mul_f64 v[2:3], v[2:3], 0.5
	v_fma_f64 v[26:27], -v[2:3], v[14:15], 0.5
	v_fma_f64 v[14:15], v[14:15], v[26:27], v[14:15]
	v_fma_f64 v[2:3], v[2:3], v[26:27], v[2:3]
	v_fma_f64 v[26:27], -v[14:15], v[14:15], v[0:1]
	v_fma_f64 v[14:15], v[26:27], v[2:3], v[14:15]
	v_fma_f64 v[26:27], -v[14:15], v[14:15], v[0:1]
	v_fma_f64 v[2:3], v[26:27], v[2:3], v[14:15]
	v_mov_b32_e32 v14, 0xffffff80
	v_mov_b32_e32 v15, 0x260
	v_cndmask_b32_e32 v14, 0, v14, vcc
	v_cmp_class_f64_e32 vcc, v[0:1], v15
	v_ldexp_f64 v[2:3], v[2:3], v14
	v_cndmask_b32_e32 v1, v3, v1, vcc
	v_cndmask_b32_e32 v0, v2, v0, vcc
	v_mul_f64 v[0:1], v[12:13], v[0:1]
.LBB3_58:
	s_or_b64 exec, exec, s[0:1]
	v_mul_f64 v[2:3], v[4:5], v[4:5]
	s_mov_b32 s0, 0
	s_brev_b32 s1, 8
	v_mov_b32_e32 v4, 0x100
	v_fma_f64 v[2:3], v[22:23], v[22:23], v[2:3]
	v_cmp_gt_f64_e32 vcc, s[0:1], v[2:3]
	v_cndmask_b32_e32 v4, 0, v4, vcc
	v_ldexp_f64 v[2:3], v[2:3], v4
	v_rsq_f64_e32 v[4:5], v[2:3]
	v_mul_f64 v[12:13], v[2:3], v[4:5]
	v_mul_f64 v[4:5], v[4:5], 0.5
	v_fma_f64 v[14:15], -v[4:5], v[12:13], 0.5
	v_fma_f64 v[12:13], v[12:13], v[14:15], v[12:13]
	v_fma_f64 v[4:5], v[4:5], v[14:15], v[4:5]
	v_fma_f64 v[14:15], -v[12:13], v[12:13], v[2:3]
	v_fma_f64 v[12:13], v[14:15], v[4:5], v[12:13]
	v_fma_f64 v[14:15], -v[12:13], v[12:13], v[2:3]
	v_fma_f64 v[4:5], v[14:15], v[4:5], v[12:13]
	v_mov_b32_e32 v12, 0xffffff80
	v_mov_b32_e32 v13, 0x260
	v_cndmask_b32_e32 v12, 0, v12, vcc
	v_cmp_class_f64_e32 vcc, v[2:3], v13
	v_ldexp_f64 v[4:5], v[4:5], v12
	v_cndmask_b32_e32 v3, v5, v3, vcc
	v_cndmask_b32_e32 v2, v4, v2, vcc
	v_mul_f64 v[4:5], v[20:21], v[2:3]
	v_div_scale_f64 v[2:3], s[0:1], v[4:5], v[4:5], v[0:1]
	v_rcp_f64_e32 v[12:13], v[2:3]
	v_fma_f64 v[14:15], -v[2:3], v[12:13], 1.0
	v_fma_f64 v[12:13], v[12:13], v[14:15], v[12:13]
	v_div_scale_f64 v[14:15], vcc, v[0:1], v[4:5], v[0:1]
	v_fma_f64 v[20:21], -v[2:3], v[12:13], 1.0
	v_fma_f64 v[12:13], v[12:13], v[20:21], v[12:13]
	v_mul_f64 v[20:21], v[14:15], v[12:13]
	v_fma_f64 v[2:3], -v[2:3], v[20:21], v[14:15]
	v_div_fmas_f64 v[2:3], v[2:3], v[12:13], v[20:21]
	v_cmp_lg_f64_e32 vcc, 0, v[4:5]
	v_div_fixup_f64 v[0:1], v[2:3], v[4:5], v[0:1]
	global_store_dwordx2 v[18:19], v[0:1], off
	global_load_dwordx4 v[0:3], v[16:17], off
	s_waitcnt vmcnt(0)
	v_mul_f64 v[12:13], v[24:25], v[2:3]
	v_mul_f64 v[2:3], v[6:7], v[2:3]
	v_fma_f64 v[12:13], v[6:7], v[0:1], v[12:13]
	v_fma_f64 v[14:15], v[24:25], v[0:1], -v[2:3]
                                        ; implicit-def: $vgpr0_vgpr1
	s_and_saveexec_b64 s[0:1], vcc
	s_xor_b64 s[0:1], exec, s[0:1]
	s_cbranch_execz .LBB3_60
; %bb.59:
	v_div_scale_f64 v[0:1], s[2:3], v[4:5], v[4:5], 0
	v_rcp_f64_e32 v[2:3], v[0:1]
	v_fma_f64 v[16:17], -v[0:1], v[2:3], 1.0
	v_fma_f64 v[2:3], v[2:3], v[16:17], v[2:3]
	v_div_scale_f64 v[16:17], vcc, 0, v[4:5], 0
	v_fma_f64 v[18:19], -v[0:1], v[2:3], 1.0
	v_fma_f64 v[2:3], v[2:3], v[18:19], v[2:3]
	v_mul_f64 v[18:19], v[16:17], v[2:3]
	v_fma_f64 v[0:1], -v[0:1], v[18:19], v[16:17]
	v_div_fmas_f64 v[0:1], v[0:1], v[2:3], v[18:19]
	v_div_fixup_f64 v[0:1], v[0:1], v[4:5], 0
	v_fma_f64 v[2:3], v[0:1], 0, v[4:5]
	v_div_scale_f64 v[16:17], s[2:3], v[2:3], v[2:3], 1.0
	v_rcp_f64_e32 v[18:19], v[16:17]
	v_fma_f64 v[20:21], -v[16:17], v[18:19], 1.0
	v_fma_f64 v[18:19], v[18:19], v[20:21], v[18:19]
	v_div_scale_f64 v[20:21], vcc, 1.0, v[2:3], 1.0
	v_fma_f64 v[22:23], -v[16:17], v[18:19], 1.0
	v_fma_f64 v[18:19], v[18:19], v[22:23], v[18:19]
	v_mul_f64 v[22:23], v[20:21], v[18:19]
	v_fma_f64 v[16:17], -v[16:17], v[22:23], v[20:21]
	v_div_fmas_f64 v[16:17], v[16:17], v[18:19], v[22:23]
	v_fma_f64 v[18:19], v[0:1], v[14:15], v[12:13]
	v_fma_f64 v[12:13], -v[0:1], v[12:13], v[14:15]
                                        ; implicit-def: $vgpr14_vgpr15
	v_div_fixup_f64 v[2:3], v[16:17], v[2:3], 1.0
	v_mul_f64 v[0:1], v[2:3], v[18:19]
	v_mul_f64 v[2:3], v[2:3], v[12:13]
                                        ; implicit-def: $vgpr12_vgpr13
.LBB3_60:
	s_andn2_saveexec_b64 s[0:1], s[0:1]
	s_cbranch_execz .LBB3_62
; %bb.61:
	v_div_scale_f64 v[0:1], s[2:3], 0, 0, v[4:5]
	v_rcp_f64_e32 v[2:3], v[0:1]
	v_fma_f64 v[16:17], -v[0:1], v[2:3], 1.0
	v_fma_f64 v[2:3], v[2:3], v[16:17], v[2:3]
	v_div_scale_f64 v[16:17], vcc, v[4:5], 0, v[4:5]
	v_fma_f64 v[18:19], -v[0:1], v[2:3], 1.0
	v_fma_f64 v[2:3], v[2:3], v[18:19], v[2:3]
	v_mul_f64 v[18:19], v[16:17], v[2:3]
	v_fma_f64 v[0:1], -v[0:1], v[18:19], v[16:17]
	v_div_fmas_f64 v[0:1], v[0:1], v[2:3], v[18:19]
	v_div_fixup_f64 v[0:1], v[0:1], 0, v[4:5]
	v_fma_f64 v[2:3], v[4:5], v[0:1], 0
	v_div_scale_f64 v[16:17], s[2:3], v[2:3], v[2:3], 1.0
	v_rcp_f64_e32 v[18:19], v[16:17]
	v_fma_f64 v[20:21], -v[16:17], v[18:19], 1.0
	v_fma_f64 v[18:19], v[18:19], v[20:21], v[18:19]
	v_div_scale_f64 v[20:21], vcc, 1.0, v[2:3], 1.0
	v_fma_f64 v[22:23], -v[16:17], v[18:19], 1.0
	v_fma_f64 v[18:19], v[18:19], v[22:23], v[18:19]
	v_mul_f64 v[22:23], v[20:21], v[18:19]
	v_fma_f64 v[16:17], -v[16:17], v[22:23], v[20:21]
	v_div_fmas_f64 v[16:17], v[16:17], v[18:19], v[22:23]
	v_fma_f64 v[18:19], v[0:1], v[12:13], v[14:15]
	v_fma_f64 v[12:13], v[0:1], v[14:15], -v[12:13]
	v_div_fixup_f64 v[2:3], v[16:17], v[2:3], 1.0
	v_mul_f64 v[0:1], v[2:3], v[18:19]
	v_mul_f64 v[2:3], v[2:3], v[12:13]
.LBB3_62:
	s_or_b64 exec, exec, s[0:1]
	v_mul_f64 v[12:13], v[24:25], 0
	v_mul_f64 v[14:15], v[6:7], 0
	v_fma_f64 v[12:13], v[4:5], v[6:7], -v[12:13]
	v_fma_f64 v[14:15], v[4:5], v[24:25], v[14:15]
	global_store_dwordx4 v[10:11], v[0:3], off
	global_store_dwordx4 v[8:9], v[12:15], off
.LBB3_63:
	s_endpgm
	.section	.rodata,"a",@progbits
	.p2align	6, 0x0
	.amdhsa_kernel _ZL19rocblas_rotg_kernelILi32EP19rocblas_complex_numIdEPdEvT0_llS4_llT1_llS4_lli
		.amdhsa_group_segment_fixed_size 0
		.amdhsa_private_segment_fixed_size 0
		.amdhsa_kernarg_size 100
		.amdhsa_user_sgpr_count 6
		.amdhsa_user_sgpr_private_segment_buffer 1
		.amdhsa_user_sgpr_dispatch_ptr 0
		.amdhsa_user_sgpr_queue_ptr 0
		.amdhsa_user_sgpr_kernarg_segment_ptr 1
		.amdhsa_user_sgpr_dispatch_id 0
		.amdhsa_user_sgpr_flat_scratch_init 0
		.amdhsa_user_sgpr_private_segment_size 0
		.amdhsa_uses_dynamic_stack 0
		.amdhsa_system_sgpr_private_segment_wavefront_offset 0
		.amdhsa_system_sgpr_workgroup_id_x 1
		.amdhsa_system_sgpr_workgroup_id_y 0
		.amdhsa_system_sgpr_workgroup_id_z 0
		.amdhsa_system_sgpr_workgroup_info 0
		.amdhsa_system_vgpr_workitem_id 0
		.amdhsa_next_free_vgpr 36
		.amdhsa_next_free_sgpr 32
		.amdhsa_reserve_vcc 1
		.amdhsa_reserve_flat_scratch 0
		.amdhsa_float_round_mode_32 0
		.amdhsa_float_round_mode_16_64 0
		.amdhsa_float_denorm_mode_32 3
		.amdhsa_float_denorm_mode_16_64 3
		.amdhsa_dx10_clamp 1
		.amdhsa_ieee_mode 1
		.amdhsa_fp16_overflow 0
		.amdhsa_exception_fp_ieee_invalid_op 0
		.amdhsa_exception_fp_denorm_src 0
		.amdhsa_exception_fp_ieee_div_zero 0
		.amdhsa_exception_fp_ieee_overflow 0
		.amdhsa_exception_fp_ieee_underflow 0
		.amdhsa_exception_fp_ieee_inexact 0
		.amdhsa_exception_int_div_zero 0
	.end_amdhsa_kernel
	.section	.text._ZL19rocblas_rotg_kernelILi32EP19rocblas_complex_numIdEPdEvT0_llS4_llT1_llS4_lli,"axG",@progbits,_ZL19rocblas_rotg_kernelILi32EP19rocblas_complex_numIdEPdEvT0_llS4_llT1_llS4_lli,comdat
.Lfunc_end3:
	.size	_ZL19rocblas_rotg_kernelILi32EP19rocblas_complex_numIdEPdEvT0_llS4_llT1_llS4_lli, .Lfunc_end3-_ZL19rocblas_rotg_kernelILi32EP19rocblas_complex_numIdEPdEvT0_llS4_llT1_llS4_lli
                                        ; -- End function
	.set _ZL19rocblas_rotg_kernelILi32EP19rocblas_complex_numIdEPdEvT0_llS4_llT1_llS4_lli.num_vgpr, 36
	.set _ZL19rocblas_rotg_kernelILi32EP19rocblas_complex_numIdEPdEvT0_llS4_llT1_llS4_lli.num_agpr, 0
	.set _ZL19rocblas_rotg_kernelILi32EP19rocblas_complex_numIdEPdEvT0_llS4_llT1_llS4_lli.numbered_sgpr, 32
	.set _ZL19rocblas_rotg_kernelILi32EP19rocblas_complex_numIdEPdEvT0_llS4_llT1_llS4_lli.num_named_barrier, 0
	.set _ZL19rocblas_rotg_kernelILi32EP19rocblas_complex_numIdEPdEvT0_llS4_llT1_llS4_lli.private_seg_size, 0
	.set _ZL19rocblas_rotg_kernelILi32EP19rocblas_complex_numIdEPdEvT0_llS4_llT1_llS4_lli.uses_vcc, 1
	.set _ZL19rocblas_rotg_kernelILi32EP19rocblas_complex_numIdEPdEvT0_llS4_llT1_llS4_lli.uses_flat_scratch, 0
	.set _ZL19rocblas_rotg_kernelILi32EP19rocblas_complex_numIdEPdEvT0_llS4_llT1_llS4_lli.has_dyn_sized_stack, 0
	.set _ZL19rocblas_rotg_kernelILi32EP19rocblas_complex_numIdEPdEvT0_llS4_llT1_llS4_lli.has_recursion, 0
	.set _ZL19rocblas_rotg_kernelILi32EP19rocblas_complex_numIdEPdEvT0_llS4_llT1_llS4_lli.has_indirect_call, 0
	.section	.AMDGPU.csdata,"",@progbits
; Kernel info:
; codeLenInByte = 6608
; TotalNumSgprs: 36
; NumVgprs: 36
; ScratchSize: 0
; MemoryBound: 0
; FloatMode: 240
; IeeeMode: 1
; LDSByteSize: 0 bytes/workgroup (compile time only)
; SGPRBlocks: 4
; VGPRBlocks: 8
; NumSGPRsForWavesPerEU: 36
; NumVGPRsForWavesPerEU: 36
; Occupancy: 7
; WaveLimiterHint : 0
; COMPUTE_PGM_RSRC2:SCRATCH_EN: 0
; COMPUTE_PGM_RSRC2:USER_SGPR: 6
; COMPUTE_PGM_RSRC2:TRAP_HANDLER: 0
; COMPUTE_PGM_RSRC2:TGID_X_EN: 1
; COMPUTE_PGM_RSRC2:TGID_Y_EN: 0
; COMPUTE_PGM_RSRC2:TGID_Z_EN: 0
; COMPUTE_PGM_RSRC2:TIDIG_COMP_CNT: 0
	.section	.text._ZL19rocblas_rotg_kernelILi32EPKPfS2_EvT0_llS3_llT1_llS3_lli,"axG",@progbits,_ZL19rocblas_rotg_kernelILi32EPKPfS2_EvT0_llS3_llT1_llS3_lli,comdat
	.globl	_ZL19rocblas_rotg_kernelILi32EPKPfS2_EvT0_llS3_llT1_llS3_lli ; -- Begin function _ZL19rocblas_rotg_kernelILi32EPKPfS2_EvT0_llS3_llT1_llS3_lli
	.p2align	8
	.type	_ZL19rocblas_rotg_kernelILi32EPKPfS2_EvT0_llS3_llT1_llS3_lli,@function
_ZL19rocblas_rotg_kernelILi32EPKPfS2_EvT0_llS3_llT1_llS3_lli: ; @_ZL19rocblas_rotg_kernelILi32EPKPfS2_EvT0_llS3_llT1_llS3_lli
; %bb.0:
	s_load_dword s0, s[4:5], 0x60
	v_lshl_or_b32 v0, s6, 5, v0
	s_waitcnt lgkmcnt(0)
	v_cmp_gt_i32_e32 vcc, s0, v0
	s_and_saveexec_b64 s[0:1], vcc
	s_cbranch_execz .LBB4_10
; %bb.1:
	s_load_dwordx4 s[12:15], s[4:5], 0x0
	s_load_dwordx4 s[16:19], s[4:5], 0x18
	v_mov_b32_e32 v1, 0
	v_lshlrev_b64 v[0:1], 3, v[0:1]
	s_waitcnt lgkmcnt(0)
	v_mov_b32_e32 v3, s13
	v_add_co_u32_e32 v2, vcc, s12, v0
	v_addc_co_u32_e32 v3, vcc, v3, v1, vcc
	global_load_dwordx2 v[2:3], v[2:3], off
	v_mov_b32_e32 v5, s17
	v_add_co_u32_e32 v4, vcc, s16, v0
	v_addc_co_u32_e32 v5, vcc, v5, v1, vcc
	global_load_dwordx2 v[4:5], v[4:5], off
	s_load_dwordx4 s[8:11], s[4:5], 0x30
	s_load_dwordx4 s[0:3], s[4:5], 0x48
	s_lshl_b64 s[4:5], s[14:15], 2
	v_mov_b32_e32 v11, s5
	s_lshl_b64 s[6:7], s[18:19], 2
	s_waitcnt lgkmcnt(0)
	v_mov_b32_e32 v7, s9
	v_add_co_u32_e32 v6, vcc, s8, v0
	v_addc_co_u32_e32 v7, vcc, v7, v1, vcc
	v_mov_b32_e32 v8, s1
	v_add_co_u32_e32 v0, vcc, s0, v0
	v_addc_co_u32_e32 v1, vcc, v8, v1, vcc
	global_load_dwordx2 v[9:10], v[6:7], off
	global_load_dwordx2 v[12:13], v[0:1], off
	v_mov_b32_e32 v14, s7
	s_lshl_b64 s[0:1], s[10:11], 2
	s_lshl_b64 s[2:3], s[2:3], 2
	v_mov_b32_e32 v7, s3
	s_waitcnt vmcnt(3)
	v_add_co_u32_e32 v0, vcc, s4, v2
	v_addc_co_u32_e32 v1, vcc, v3, v11, vcc
	flat_load_dword v8, v[0:1]
	s_waitcnt vmcnt(0)
	v_add_co_u32_e32 v2, vcc, s6, v4
	v_addc_co_u32_e32 v3, vcc, v5, v14, vcc
	flat_load_dword v11, v[2:3]
	v_mov_b32_e32 v5, s1
                                        ; implicit-def: $vgpr14
	v_add_co_u32_e32 v4, vcc, s0, v9
	v_addc_co_u32_e32 v5, vcc, v10, v5, vcc
	v_add_co_u32_e32 v6, vcc, s2, v12
	v_addc_co_u32_e32 v7, vcc, v13, v7, vcc
                                        ; implicit-def: $vgpr9
	s_waitcnt lgkmcnt(0)
	v_cmp_gt_f32_e32 vcc, 0, v8
	v_cndmask_b32_e64 v12, v8, -v8, vcc
	s_waitcnt vmcnt(0)
	v_cmp_gt_f32_e32 vcc, 0, v11
	v_cndmask_b32_e64 v13, v11, -v11, vcc
	v_add_f32_e32 v10, v12, v13
	v_cmp_neq_f32_e32 vcc, 0, v10
	s_and_saveexec_b64 s[0:1], vcc
	s_xor_b64 s[2:3], exec, s[0:1]
	s_cbranch_execz .LBB4_7
; %bb.2:
	v_div_scale_f32 v9, s[0:1], v10, v10, v8
	v_div_scale_f32 v14, s[0:1], v10, v10, v11
	v_div_scale_f32 v15, vcc, v8, v10, v8
	s_brev_b32 s4, -2
	v_rcp_f32_e32 v16, v9
	v_rcp_f32_e32 v17, v14
	v_fma_f32 v18, -v9, v16, 1.0
	v_fmac_f32_e32 v16, v18, v16
	v_fma_f32 v19, -v14, v17, 1.0
	v_mul_f32_e32 v18, v15, v16
	v_fmac_f32_e32 v17, v19, v17
	v_fma_f32 v19, -v9, v18, v15
	v_fmac_f32_e32 v18, v19, v16
	v_div_scale_f32 v19, s[0:1], v11, v10, v11
	v_fma_f32 v9, -v9, v18, v15
	v_div_fmas_f32 v9, v9, v16, v18
	s_mov_b64 vcc, s[0:1]
	s_mov_b32 s0, 0xf800000
	v_mov_b32_e32 v15, 0x260
	v_mul_f32_e32 v20, v19, v17
	v_fma_f32 v21, -v14, v20, v19
	v_fmac_f32_e32 v20, v21, v17
	v_fma_f32 v14, -v14, v20, v19
	v_div_fmas_f32 v14, v14, v17, v20
	v_div_fixup_f32 v9, v9, v10, v8
	v_div_fixup_f32 v14, v14, v10, v11
	v_mul_f32_e32 v14, v14, v14
	v_fmac_f32_e32 v14, v9, v9
	v_mul_f32_e32 v9, 0x4f800000, v14
	v_cmp_gt_f32_e32 vcc, s0, v14
	v_cndmask_b32_e32 v9, v14, v9, vcc
	v_sqrt_f32_e32 v14, v9
	v_cmp_gt_f32_e64 s[0:1], v12, v13
	v_cndmask_b32_e64 v11, v11, v8, s[0:1]
	v_add_u32_e32 v12, -1, v14
	v_add_u32_e32 v13, 1, v14
	v_fma_f32 v16, -v12, v14, v9
	v_fma_f32 v17, -v13, v14, v9
	v_cmp_ge_f32_e64 s[0:1], 0, v16
	v_cndmask_b32_e64 v12, v14, v12, s[0:1]
	v_cmp_lt_f32_e64 s[0:1], 0, v17
	v_cndmask_b32_e64 v12, v12, v13, s[0:1]
	v_mul_f32_e32 v13, 0x37800000, v12
	v_cndmask_b32_e32 v12, v12, v13, vcc
	v_cmp_class_f32_e32 vcc, v9, v15
	v_cndmask_b32_e32 v9, v12, v9, vcc
	v_mul_f32_e32 v9, v10, v9
	v_bfi_b32 v9, s4, v9, v11
	v_div_scale_f32 v10, s[0:1], v9, v9, v8
	v_div_scale_f32 v11, vcc, v8, v9, v8
	v_rcp_f32_e32 v12, v10
	v_fma_f32 v13, -v10, v12, 1.0
	v_fmac_f32_e32 v12, v13, v12
	v_mul_f32_e32 v13, v11, v12
	v_fma_f32 v14, -v10, v13, v11
	v_fmac_f32_e32 v13, v14, v12
	v_fma_f32 v10, -v10, v13, v11
	v_div_fmas_f32 v10, v10, v12, v13
	v_div_fixup_f32 v8, v10, v9, v8
	flat_store_dword v[4:5], v8
	flat_load_dword v8, v[2:3]
	s_waitcnt vmcnt(0) lgkmcnt(0)
	v_div_scale_f32 v10, s[0:1], v9, v9, v8
	v_div_scale_f32 v11, vcc, v8, v9, v8
	v_rcp_f32_e32 v12, v10
	v_fma_f32 v13, -v10, v12, 1.0
	v_fmac_f32_e32 v12, v13, v12
	v_mul_f32_e32 v13, v11, v12
	v_fma_f32 v14, -v10, v13, v11
	v_fmac_f32_e32 v13, v14, v12
	v_fma_f32 v10, -v10, v13, v11
	v_div_fmas_f32 v10, v10, v12, v13
	v_div_fixup_f32 v8, v10, v9, v8
	flat_store_dword v[6:7], v8
	flat_load_dword v6, v[0:1]
	s_nop 0
	flat_load_dword v7, v[2:3]
	s_waitcnt vmcnt(0) lgkmcnt(0)
	v_cmp_gt_f32_e32 vcc, 0, v6
	v_cndmask_b32_e64 v6, v6, -v6, vcc
	v_cmp_gt_f32_e32 vcc, 0, v7
	v_cndmask_b32_e64 v7, v7, -v7, vcc
	v_cmp_gt_f32_e32 vcc, v6, v7
	v_cndmask_b32_e32 v14, 1.0, v8, vcc
	v_cmp_ge_f32_e32 vcc, v7, v6
	s_and_saveexec_b64 s[0:1], vcc
	s_cbranch_execz .LBB4_6
; %bb.3:
	flat_load_dword v4, v[4:5]
	s_waitcnt vmcnt(0) lgkmcnt(0)
	v_cmp_neq_f32_e32 vcc, 0, v4
	s_and_saveexec_b64 s[4:5], vcc
	s_cbranch_execz .LBB4_5
; %bb.4:
	v_div_scale_f32 v5, s[6:7], v4, v4, 1.0
	v_div_scale_f32 v6, vcc, 1.0, v4, 1.0
	v_rcp_f32_e32 v7, v5
	v_fma_f32 v8, -v5, v7, 1.0
	v_fmac_f32_e32 v7, v8, v7
	v_mul_f32_e32 v8, v6, v7
	v_fma_f32 v10, -v5, v8, v6
	v_fmac_f32_e32 v8, v10, v7
	v_fma_f32 v5, -v5, v8, v6
	v_div_fmas_f32 v5, v5, v7, v8
	v_div_fixup_f32 v14, v5, v4, 1.0
.LBB4_5:
	s_or_b64 exec, exec, s[4:5]
.LBB4_6:
	s_or_b64 exec, exec, s[0:1]
                                        ; implicit-def: $vgpr4_vgpr5
                                        ; implicit-def: $vgpr6_vgpr7
.LBB4_7:
	s_andn2_saveexec_b64 s[0:1], s[2:3]
	s_cbranch_execz .LBB4_9
; %bb.8:
	v_mov_b32_e32 v8, 1.0
	v_mov_b32_e32 v9, 0
	v_mov_b32_e32 v14, 0
	flat_store_dword v[4:5], v8
	flat_store_dword v[6:7], v9
.LBB4_9:
	s_or_b64 exec, exec, s[0:1]
	flat_store_dword v[0:1], v9
	flat_store_dword v[2:3], v14
.LBB4_10:
	s_endpgm
	.section	.rodata,"a",@progbits
	.p2align	6, 0x0
	.amdhsa_kernel _ZL19rocblas_rotg_kernelILi32EPKPfS2_EvT0_llS3_llT1_llS3_lli
		.amdhsa_group_segment_fixed_size 0
		.amdhsa_private_segment_fixed_size 0
		.amdhsa_kernarg_size 100
		.amdhsa_user_sgpr_count 6
		.amdhsa_user_sgpr_private_segment_buffer 1
		.amdhsa_user_sgpr_dispatch_ptr 0
		.amdhsa_user_sgpr_queue_ptr 0
		.amdhsa_user_sgpr_kernarg_segment_ptr 1
		.amdhsa_user_sgpr_dispatch_id 0
		.amdhsa_user_sgpr_flat_scratch_init 0
		.amdhsa_user_sgpr_private_segment_size 0
		.amdhsa_uses_dynamic_stack 0
		.amdhsa_system_sgpr_private_segment_wavefront_offset 0
		.amdhsa_system_sgpr_workgroup_id_x 1
		.amdhsa_system_sgpr_workgroup_id_y 0
		.amdhsa_system_sgpr_workgroup_id_z 0
		.amdhsa_system_sgpr_workgroup_info 0
		.amdhsa_system_vgpr_workitem_id 0
		.amdhsa_next_free_vgpr 22
		.amdhsa_next_free_sgpr 20
		.amdhsa_reserve_vcc 1
		.amdhsa_reserve_flat_scratch 0
		.amdhsa_float_round_mode_32 0
		.amdhsa_float_round_mode_16_64 0
		.amdhsa_float_denorm_mode_32 3
		.amdhsa_float_denorm_mode_16_64 3
		.amdhsa_dx10_clamp 1
		.amdhsa_ieee_mode 1
		.amdhsa_fp16_overflow 0
		.amdhsa_exception_fp_ieee_invalid_op 0
		.amdhsa_exception_fp_denorm_src 0
		.amdhsa_exception_fp_ieee_div_zero 0
		.amdhsa_exception_fp_ieee_overflow 0
		.amdhsa_exception_fp_ieee_underflow 0
		.amdhsa_exception_fp_ieee_inexact 0
		.amdhsa_exception_int_div_zero 0
	.end_amdhsa_kernel
	.section	.text._ZL19rocblas_rotg_kernelILi32EPKPfS2_EvT0_llS3_llT1_llS3_lli,"axG",@progbits,_ZL19rocblas_rotg_kernelILi32EPKPfS2_EvT0_llS3_llT1_llS3_lli,comdat
.Lfunc_end4:
	.size	_ZL19rocblas_rotg_kernelILi32EPKPfS2_EvT0_llS3_llT1_llS3_lli, .Lfunc_end4-_ZL19rocblas_rotg_kernelILi32EPKPfS2_EvT0_llS3_llT1_llS3_lli
                                        ; -- End function
	.set _ZL19rocblas_rotg_kernelILi32EPKPfS2_EvT0_llS3_llT1_llS3_lli.num_vgpr, 22
	.set _ZL19rocblas_rotg_kernelILi32EPKPfS2_EvT0_llS3_llT1_llS3_lli.num_agpr, 0
	.set _ZL19rocblas_rotg_kernelILi32EPKPfS2_EvT0_llS3_llT1_llS3_lli.numbered_sgpr, 20
	.set _ZL19rocblas_rotg_kernelILi32EPKPfS2_EvT0_llS3_llT1_llS3_lli.num_named_barrier, 0
	.set _ZL19rocblas_rotg_kernelILi32EPKPfS2_EvT0_llS3_llT1_llS3_lli.private_seg_size, 0
	.set _ZL19rocblas_rotg_kernelILi32EPKPfS2_EvT0_llS3_llT1_llS3_lli.uses_vcc, 1
	.set _ZL19rocblas_rotg_kernelILi32EPKPfS2_EvT0_llS3_llT1_llS3_lli.uses_flat_scratch, 0
	.set _ZL19rocblas_rotg_kernelILi32EPKPfS2_EvT0_llS3_llT1_llS3_lli.has_dyn_sized_stack, 0
	.set _ZL19rocblas_rotg_kernelILi32EPKPfS2_EvT0_llS3_llT1_llS3_lli.has_recursion, 0
	.set _ZL19rocblas_rotg_kernelILi32EPKPfS2_EvT0_llS3_llT1_llS3_lli.has_indirect_call, 0
	.section	.AMDGPU.csdata,"",@progbits
; Kernel info:
; codeLenInByte = 1008
; TotalNumSgprs: 24
; NumVgprs: 22
; ScratchSize: 0
; MemoryBound: 0
; FloatMode: 240
; IeeeMode: 1
; LDSByteSize: 0 bytes/workgroup (compile time only)
; SGPRBlocks: 2
; VGPRBlocks: 5
; NumSGPRsForWavesPerEU: 24
; NumVGPRsForWavesPerEU: 22
; Occupancy: 10
; WaveLimiterHint : 1
; COMPUTE_PGM_RSRC2:SCRATCH_EN: 0
; COMPUTE_PGM_RSRC2:USER_SGPR: 6
; COMPUTE_PGM_RSRC2:TRAP_HANDLER: 0
; COMPUTE_PGM_RSRC2:TGID_X_EN: 1
; COMPUTE_PGM_RSRC2:TGID_Y_EN: 0
; COMPUTE_PGM_RSRC2:TGID_Z_EN: 0
; COMPUTE_PGM_RSRC2:TIDIG_COMP_CNT: 0
	.section	.text._ZL19rocblas_rotg_kernelILi32EPKPdS2_EvT0_llS3_llT1_llS3_lli,"axG",@progbits,_ZL19rocblas_rotg_kernelILi32EPKPdS2_EvT0_llS3_llT1_llS3_lli,comdat
	.globl	_ZL19rocblas_rotg_kernelILi32EPKPdS2_EvT0_llS3_llT1_llS3_lli ; -- Begin function _ZL19rocblas_rotg_kernelILi32EPKPdS2_EvT0_llS3_llT1_llS3_lli
	.p2align	8
	.type	_ZL19rocblas_rotg_kernelILi32EPKPdS2_EvT0_llS3_llT1_llS3_lli,@function
_ZL19rocblas_rotg_kernelILi32EPKPdS2_EvT0_llS3_llT1_llS3_lli: ; @_ZL19rocblas_rotg_kernelILi32EPKPdS2_EvT0_llS3_llT1_llS3_lli
; %bb.0:
	s_load_dword s0, s[4:5], 0x60
	v_lshl_or_b32 v0, s6, 5, v0
	s_waitcnt lgkmcnt(0)
	v_cmp_gt_i32_e32 vcc, s0, v0
	s_and_saveexec_b64 s[0:1], vcc
	s_cbranch_execz .LBB5_10
; %bb.1:
	s_load_dwordx4 s[0:3], s[4:5], 0x0
	s_load_dwordx4 s[8:11], s[4:5], 0x18
	v_mov_b32_e32 v1, 0
	v_lshlrev_b64 v[4:5], 3, v[0:1]
	s_waitcnt lgkmcnt(0)
	v_mov_b32_e32 v1, s1
	v_add_co_u32_e32 v0, vcc, s0, v4
	v_addc_co_u32_e32 v1, vcc, v1, v5, vcc
	global_load_dwordx2 v[0:1], v[0:1], off
	v_mov_b32_e32 v3, s9
	v_add_co_u32_e32 v2, vcc, s8, v4
	v_addc_co_u32_e32 v3, vcc, v3, v5, vcc
	global_load_dwordx2 v[2:3], v[2:3], off
	s_lshl_b64 s[0:1], s[2:3], 3
	v_mov_b32_e32 v6, s1
	s_lshl_b64 s[2:3], s[10:11], 3
	v_mov_b32_e32 v8, s3
	s_waitcnt vmcnt(1)
	v_add_co_u32_e32 v0, vcc, s0, v0
	v_addc_co_u32_e32 v1, vcc, v1, v6, vcc
	flat_load_dwordx2 v[6:7], v[0:1]
	s_waitcnt vmcnt(0)
	v_add_co_u32_e32 v2, vcc, s2, v2
	v_addc_co_u32_e32 v3, vcc, v3, v8, vcc
	flat_load_dwordx2 v[12:13], v[2:3]
	s_load_dwordx4 s[0:3], s[4:5], 0x30
	s_load_dwordx4 s[8:11], s[4:5], 0x48
	s_waitcnt lgkmcnt(0)
	v_mov_b32_e32 v9, s1
	v_add_co_u32_e32 v8, vcc, s0, v4
	v_addc_co_u32_e32 v9, vcc, v9, v5, vcc
	v_mov_b32_e32 v10, s9
	global_load_dwordx2 v[8:9], v[8:9], off
	v_add_co_u32_e32 v4, vcc, s8, v4
	v_addc_co_u32_e32 v5, vcc, v10, v5, vcc
	global_load_dwordx2 v[10:11], v[4:5], off
	s_lshl_b64 s[0:1], s[2:3], 3
	s_lshl_b64 s[2:3], s[10:11], 3
	v_mov_b32_e32 v20, s3
	v_cmp_gt_f64_e32 vcc, 0, v[6:7]
	v_xor_b32_e32 v4, 0x80000000, v7
	v_mov_b32_e32 v14, v6
	s_waitcnt vmcnt(0)
	v_xor_b32_e32 v5, 0x80000000, v13
	v_mov_b32_e32 v16, v12
	v_cndmask_b32_e32 v15, v7, v4, vcc
	v_cmp_gt_f64_e32 vcc, 0, v[12:13]
	v_cndmask_b32_e32 v17, v13, v5, vcc
	v_add_f64 v[18:19], v[14:15], v[16:17]
	v_mov_b32_e32 v5, s1
	v_add_co_u32_e64 v4, s[0:1], s0, v8
	v_addc_co_u32_e64 v5, s[0:1], v9, v5, s[0:1]
	v_add_co_u32_e64 v8, s[0:1], s2, v10
	v_cmp_neq_f64_e32 vcc, 0, v[18:19]
	v_addc_co_u32_e64 v9, s[0:1], v11, v20, s[0:1]
                                        ; implicit-def: $vgpr20_vgpr21
                                        ; implicit-def: $vgpr10_vgpr11
	s_and_saveexec_b64 s[0:1], vcc
	s_xor_b64 s[2:3], exec, s[0:1]
	s_cbranch_execz .LBB5_7
; %bb.2:
	v_div_scale_f64 v[10:11], s[0:1], v[18:19], v[18:19], v[6:7]
	v_div_scale_f64 v[24:25], vcc, v[6:7], v[18:19], v[6:7]
	v_rcp_f64_e32 v[20:21], v[10:11]
	v_fma_f64 v[22:23], -v[10:11], v[20:21], 1.0
	v_fma_f64 v[20:21], v[20:21], v[22:23], v[20:21]
	v_fma_f64 v[22:23], -v[10:11], v[20:21], 1.0
	v_fma_f64 v[20:21], v[20:21], v[22:23], v[20:21]
	v_div_scale_f64 v[22:23], s[0:1], v[18:19], v[18:19], v[12:13]
	s_mov_b32 s0, 0
	s_brev_b32 s1, 8
	v_mul_f64 v[26:27], v[24:25], v[20:21]
	v_fma_f64 v[10:11], -v[10:11], v[26:27], v[24:25]
	v_rcp_f64_e32 v[24:25], v[22:23]
	v_div_fmas_f64 v[10:11], v[10:11], v[20:21], v[26:27]
	v_div_scale_f64 v[20:21], vcc, v[12:13], v[18:19], v[12:13]
	v_fma_f64 v[28:29], -v[22:23], v[24:25], 1.0
	v_div_fixup_f64 v[10:11], v[10:11], v[18:19], v[6:7]
	v_fma_f64 v[24:25], v[24:25], v[28:29], v[24:25]
	v_fma_f64 v[26:27], -v[22:23], v[24:25], 1.0
	v_fma_f64 v[24:25], v[24:25], v[26:27], v[24:25]
	v_mul_f64 v[26:27], v[20:21], v[24:25]
	v_fma_f64 v[20:21], -v[22:23], v[26:27], v[20:21]
	v_div_fmas_f64 v[20:21], v[20:21], v[24:25], v[26:27]
	v_div_fixup_f64 v[20:21], v[20:21], v[18:19], v[12:13]
	v_mov_b32_e32 v12, 0x100
	v_mul_f64 v[20:21], v[20:21], v[20:21]
	v_fma_f64 v[10:11], v[10:11], v[10:11], v[20:21]
	v_cmp_gt_f64_e32 vcc, s[0:1], v[10:11]
	s_brev_b32 s0, -2
	v_cndmask_b32_e32 v12, 0, v12, vcc
	v_ldexp_f64 v[10:11], v[10:11], v12
	v_mov_b32_e32 v12, 0x260
	v_rsq_f64_e32 v[20:21], v[10:11]
	v_mul_f64 v[22:23], v[10:11], v[20:21]
	v_mul_f64 v[20:21], v[20:21], 0.5
	v_fma_f64 v[24:25], -v[20:21], v[22:23], 0.5
	v_fma_f64 v[22:23], v[22:23], v[24:25], v[22:23]
	v_fma_f64 v[20:21], v[20:21], v[24:25], v[20:21]
	v_fma_f64 v[24:25], -v[22:23], v[22:23], v[10:11]
	v_fma_f64 v[22:23], v[24:25], v[20:21], v[22:23]
	v_fma_f64 v[24:25], -v[22:23], v[22:23], v[10:11]
	v_fma_f64 v[20:21], v[24:25], v[20:21], v[22:23]
	v_mov_b32_e32 v22, 0xffffff80
	v_cndmask_b32_e32 v22, 0, v22, vcc
	v_cmp_class_f64_e32 vcc, v[10:11], v12
	v_ldexp_f64 v[20:21], v[20:21], v22
	v_cndmask_b32_e32 v11, v21, v11, vcc
	v_cndmask_b32_e32 v10, v20, v10, vcc
	v_cmp_gt_f64_e32 vcc, v[14:15], v[16:17]
	v_mul_f64 v[10:11], v[18:19], v[10:11]
	v_cndmask_b32_e32 v12, v13, v7, vcc
	v_bfi_b32 v11, s0, v11, v12
	v_div_scale_f64 v[12:13], s[0:1], v[10:11], v[10:11], v[6:7]
	v_rcp_f64_e32 v[14:15], v[12:13]
	v_fma_f64 v[16:17], -v[12:13], v[14:15], 1.0
	v_fma_f64 v[14:15], v[14:15], v[16:17], v[14:15]
	v_div_scale_f64 v[16:17], vcc, v[6:7], v[10:11], v[6:7]
	v_fma_f64 v[18:19], -v[12:13], v[14:15], 1.0
	v_fma_f64 v[14:15], v[14:15], v[18:19], v[14:15]
	v_mul_f64 v[18:19], v[16:17], v[14:15]
	v_fma_f64 v[12:13], -v[12:13], v[18:19], v[16:17]
	v_div_fmas_f64 v[12:13], v[12:13], v[14:15], v[18:19]
	v_div_fixup_f64 v[6:7], v[12:13], v[10:11], v[6:7]
	flat_store_dwordx2 v[4:5], v[6:7]
	flat_load_dwordx2 v[6:7], v[2:3]
	s_waitcnt vmcnt(0) lgkmcnt(0)
	v_div_scale_f64 v[12:13], s[0:1], v[10:11], v[10:11], v[6:7]
	v_rcp_f64_e32 v[14:15], v[12:13]
	v_fma_f64 v[16:17], -v[12:13], v[14:15], 1.0
	v_fma_f64 v[14:15], v[14:15], v[16:17], v[14:15]
	v_div_scale_f64 v[16:17], vcc, v[6:7], v[10:11], v[6:7]
	v_fma_f64 v[18:19], -v[12:13], v[14:15], 1.0
	v_fma_f64 v[14:15], v[14:15], v[18:19], v[14:15]
	v_mul_f64 v[18:19], v[16:17], v[14:15]
	v_fma_f64 v[12:13], -v[12:13], v[18:19], v[16:17]
	v_div_fmas_f64 v[12:13], v[12:13], v[14:15], v[18:19]
	v_div_fixup_f64 v[6:7], v[12:13], v[10:11], v[6:7]
	flat_store_dwordx2 v[8:9], v[6:7]
	flat_load_dwordx2 v[8:9], v[0:1]
	s_nop 0
	flat_load_dwordx2 v[12:13], v[2:3]
	s_waitcnt vmcnt(0) lgkmcnt(0)
	v_cmp_gt_f64_e32 vcc, 0, v[8:9]
	v_xor_b32_e32 v14, 0x80000000, v9
	v_xor_b32_e32 v15, 0x80000000, v13
	v_cndmask_b32_e32 v9, v9, v14, vcc
	v_cmp_gt_f64_e32 vcc, 0, v[12:13]
	v_mov_b32_e32 v14, 0x3ff00000
	v_cndmask_b32_e32 v13, v13, v15, vcc
	v_cmp_gt_f64_e32 vcc, v[8:9], v[12:13]
	v_cmp_ge_f64_e64 s[0:1], v[12:13], v[8:9]
	v_cndmask_b32_e32 v21, v14, v7, vcc
	v_cndmask_b32_e32 v20, 0, v6, vcc
	s_and_saveexec_b64 s[4:5], s[0:1]
	s_cbranch_execz .LBB5_6
; %bb.3:
	flat_load_dwordx2 v[4:5], v[4:5]
	s_waitcnt vmcnt(0) lgkmcnt(0)
	v_cmp_neq_f64_e32 vcc, 0, v[4:5]
	s_and_saveexec_b64 s[0:1], vcc
	s_cbranch_execz .LBB5_5
; %bb.4:
	v_div_scale_f64 v[6:7], s[6:7], v[4:5], v[4:5], 1.0
	v_div_scale_f64 v[14:15], vcc, 1.0, v[4:5], 1.0
	v_rcp_f64_e32 v[8:9], v[6:7]
	v_fma_f64 v[12:13], -v[6:7], v[8:9], 1.0
	v_fma_f64 v[8:9], v[8:9], v[12:13], v[8:9]
	v_fma_f64 v[12:13], -v[6:7], v[8:9], 1.0
	v_fma_f64 v[8:9], v[8:9], v[12:13], v[8:9]
	v_mul_f64 v[12:13], v[14:15], v[8:9]
	v_fma_f64 v[6:7], -v[6:7], v[12:13], v[14:15]
	v_div_fmas_f64 v[6:7], v[6:7], v[8:9], v[12:13]
	v_div_fixup_f64 v[20:21], v[6:7], v[4:5], 1.0
.LBB5_5:
	s_or_b64 exec, exec, s[0:1]
.LBB5_6:
	s_or_b64 exec, exec, s[4:5]
                                        ; implicit-def: $vgpr4_vgpr5
                                        ; implicit-def: $vgpr8_vgpr9
.LBB5_7:
	s_andn2_saveexec_b64 s[0:1], s[2:3]
	s_cbranch_execz .LBB5_9
; %bb.8:
	v_mov_b32_e32 v6, 0
	v_mov_b32_e32 v7, 0x3ff00000
	;; [unrolled: 1-line block ×4, first 2 shown]
	flat_store_dwordx2 v[4:5], v[6:7]
	v_mov_b32_e32 v7, v6
	v_mov_b32_e32 v11, 0
	;; [unrolled: 1-line block ×3, first 2 shown]
	flat_store_dwordx2 v[8:9], v[6:7]
.LBB5_9:
	s_or_b64 exec, exec, s[0:1]
	flat_store_dwordx2 v[0:1], v[10:11]
	flat_store_dwordx2 v[2:3], v[20:21]
.LBB5_10:
	s_endpgm
	.section	.rodata,"a",@progbits
	.p2align	6, 0x0
	.amdhsa_kernel _ZL19rocblas_rotg_kernelILi32EPKPdS2_EvT0_llS3_llT1_llS3_lli
		.amdhsa_group_segment_fixed_size 0
		.amdhsa_private_segment_fixed_size 0
		.amdhsa_kernarg_size 100
		.amdhsa_user_sgpr_count 6
		.amdhsa_user_sgpr_private_segment_buffer 1
		.amdhsa_user_sgpr_dispatch_ptr 0
		.amdhsa_user_sgpr_queue_ptr 0
		.amdhsa_user_sgpr_kernarg_segment_ptr 1
		.amdhsa_user_sgpr_dispatch_id 0
		.amdhsa_user_sgpr_flat_scratch_init 0
		.amdhsa_user_sgpr_private_segment_size 0
		.amdhsa_uses_dynamic_stack 0
		.amdhsa_system_sgpr_private_segment_wavefront_offset 0
		.amdhsa_system_sgpr_workgroup_id_x 1
		.amdhsa_system_sgpr_workgroup_id_y 0
		.amdhsa_system_sgpr_workgroup_id_z 0
		.amdhsa_system_sgpr_workgroup_info 0
		.amdhsa_system_vgpr_workitem_id 0
		.amdhsa_next_free_vgpr 30
		.amdhsa_next_free_sgpr 12
		.amdhsa_reserve_vcc 1
		.amdhsa_reserve_flat_scratch 0
		.amdhsa_float_round_mode_32 0
		.amdhsa_float_round_mode_16_64 0
		.amdhsa_float_denorm_mode_32 3
		.amdhsa_float_denorm_mode_16_64 3
		.amdhsa_dx10_clamp 1
		.amdhsa_ieee_mode 1
		.amdhsa_fp16_overflow 0
		.amdhsa_exception_fp_ieee_invalid_op 0
		.amdhsa_exception_fp_denorm_src 0
		.amdhsa_exception_fp_ieee_div_zero 0
		.amdhsa_exception_fp_ieee_overflow 0
		.amdhsa_exception_fp_ieee_underflow 0
		.amdhsa_exception_fp_ieee_inexact 0
		.amdhsa_exception_int_div_zero 0
	.end_amdhsa_kernel
	.section	.text._ZL19rocblas_rotg_kernelILi32EPKPdS2_EvT0_llS3_llT1_llS3_lli,"axG",@progbits,_ZL19rocblas_rotg_kernelILi32EPKPdS2_EvT0_llS3_llT1_llS3_lli,comdat
.Lfunc_end5:
	.size	_ZL19rocblas_rotg_kernelILi32EPKPdS2_EvT0_llS3_llT1_llS3_lli, .Lfunc_end5-_ZL19rocblas_rotg_kernelILi32EPKPdS2_EvT0_llS3_llT1_llS3_lli
                                        ; -- End function
	.set _ZL19rocblas_rotg_kernelILi32EPKPdS2_EvT0_llS3_llT1_llS3_lli.num_vgpr, 30
	.set _ZL19rocblas_rotg_kernelILi32EPKPdS2_EvT0_llS3_llT1_llS3_lli.num_agpr, 0
	.set _ZL19rocblas_rotg_kernelILi32EPKPdS2_EvT0_llS3_llT1_llS3_lli.numbered_sgpr, 12
	.set _ZL19rocblas_rotg_kernelILi32EPKPdS2_EvT0_llS3_llT1_llS3_lli.num_named_barrier, 0
	.set _ZL19rocblas_rotg_kernelILi32EPKPdS2_EvT0_llS3_llT1_llS3_lli.private_seg_size, 0
	.set _ZL19rocblas_rotg_kernelILi32EPKPdS2_EvT0_llS3_llT1_llS3_lli.uses_vcc, 1
	.set _ZL19rocblas_rotg_kernelILi32EPKPdS2_EvT0_llS3_llT1_llS3_lli.uses_flat_scratch, 0
	.set _ZL19rocblas_rotg_kernelILi32EPKPdS2_EvT0_llS3_llT1_llS3_lli.has_dyn_sized_stack, 0
	.set _ZL19rocblas_rotg_kernelILi32EPKPdS2_EvT0_llS3_llT1_llS3_lli.has_recursion, 0
	.set _ZL19rocblas_rotg_kernelILi32EPKPdS2_EvT0_llS3_llT1_llS3_lli.has_indirect_call, 0
	.section	.AMDGPU.csdata,"",@progbits
; Kernel info:
; codeLenInByte = 1180
; TotalNumSgprs: 16
; NumVgprs: 30
; ScratchSize: 0
; MemoryBound: 0
; FloatMode: 240
; IeeeMode: 1
; LDSByteSize: 0 bytes/workgroup (compile time only)
; SGPRBlocks: 1
; VGPRBlocks: 7
; NumSGPRsForWavesPerEU: 16
; NumVGPRsForWavesPerEU: 30
; Occupancy: 8
; WaveLimiterHint : 1
; COMPUTE_PGM_RSRC2:SCRATCH_EN: 0
; COMPUTE_PGM_RSRC2:USER_SGPR: 6
; COMPUTE_PGM_RSRC2:TRAP_HANDLER: 0
; COMPUTE_PGM_RSRC2:TGID_X_EN: 1
; COMPUTE_PGM_RSRC2:TGID_Y_EN: 0
; COMPUTE_PGM_RSRC2:TGID_Z_EN: 0
; COMPUTE_PGM_RSRC2:TIDIG_COMP_CNT: 0
	.section	.text._ZL19rocblas_rotg_kernelILi32EPKP19rocblas_complex_numIfEPKPfEvT0_llS8_llT1_llS8_lli,"axG",@progbits,_ZL19rocblas_rotg_kernelILi32EPKP19rocblas_complex_numIfEPKPfEvT0_llS8_llT1_llS8_lli,comdat
	.globl	_ZL19rocblas_rotg_kernelILi32EPKP19rocblas_complex_numIfEPKPfEvT0_llS8_llT1_llS8_lli ; -- Begin function _ZL19rocblas_rotg_kernelILi32EPKP19rocblas_complex_numIfEPKPfEvT0_llS8_llT1_llS8_lli
	.p2align	8
	.type	_ZL19rocblas_rotg_kernelILi32EPKP19rocblas_complex_numIfEPKPfEvT0_llS8_llT1_llS8_lli,@function
_ZL19rocblas_rotg_kernelILi32EPKP19rocblas_complex_numIfEPKPfEvT0_llS8_llT1_llS8_lli: ; @_ZL19rocblas_rotg_kernelILi32EPKP19rocblas_complex_numIfEPKPfEvT0_llS8_llT1_llS8_lli
; %bb.0:
	s_load_dword s0, s[4:5], 0x60
	v_lshl_or_b32 v9, s6, 5, v0
	s_waitcnt lgkmcnt(0)
	v_cmp_gt_i32_e32 vcc, s0, v9
	s_and_saveexec_b64 s[0:1], vcc
	s_cbranch_execz .LBB6_63
; %bb.1:
	s_load_dwordx4 s[0:3], s[4:5], 0x0
	s_load_dwordx4 s[8:11], s[4:5], 0x18
	v_mov_b32_e32 v10, 0
	v_lshlrev_b64 v[2:3], 3, v[9:10]
	s_waitcnt lgkmcnt(0)
	v_mov_b32_e32 v1, s1
	v_add_co_u32_e32 v0, vcc, s0, v2
	v_addc_co_u32_e32 v1, vcc, v1, v3, vcc
	global_load_dwordx2 v[0:1], v[0:1], off
	s_load_dwordx4 s[16:19], s[4:5], 0x30
	s_load_dwordx4 s[12:15], s[4:5], 0x48
	v_mov_b32_e32 v4, s9
	v_add_co_u32_e32 v11, vcc, s8, v2
	v_addc_co_u32_e32 v12, vcc, v4, v3, vcc
	s_waitcnt lgkmcnt(0)
	v_mov_b32_e32 v5, s17
	v_add_co_u32_e32 v13, vcc, s16, v2
	s_lshl_b64 s[0:1], s[2:3], 3
	v_addc_co_u32_e32 v14, vcc, v5, v3, vcc
	v_mov_b32_e32 v7, s1
	v_mov_b32_e32 v6, s13
	s_waitcnt vmcnt(0)
	v_add_co_u32_e32 v0, vcc, s0, v0
	v_addc_co_u32_e32 v1, vcc, v1, v7, vcc
	flat_load_dwordx2 v[8:9], v[0:1]
	v_add_co_u32_e32 v15, vcc, s12, v2
	v_addc_co_u32_e32 v16, vcc, v6, v3, vcc
	global_load_dwordx2 v[4:5], v[11:12], off
	global_load_dwordx2 v[6:7], v[13:14], off
	;; [unrolled: 1-line block ×3, first 2 shown]
	s_waitcnt vmcnt(0) lgkmcnt(0)
	v_cmp_gt_f32_e32 vcc, 0, v8
	v_cndmask_b32_e64 v8, v8, -v8, vcc
	v_cmp_gt_f32_e32 vcc, 0, v9
	v_cndmask_b32_e64 v14, v9, -v9, vcc
	v_cmp_ngt_f32_e64 s[0:1], v8, v14
	s_and_saveexec_b64 s[2:3], s[0:1]
	s_xor_b64 s[4:5], exec, s[2:3]
	s_cbranch_execz .LBB6_5
; %bb.2:
	v_cmp_neq_f32_e32 vcc, 0, v9
	s_and_saveexec_b64 s[6:7], vcc
	s_cbranch_execz .LBB6_4
; %bb.3:
	v_div_scale_f32 v10, s[2:3], v14, v14, v8
	v_div_scale_f32 v11, vcc, v8, v14, v8
	s_mov_b32 s2, 0xf800000
	v_rcp_f32_e32 v12, v10
	v_fma_f32 v13, -v10, v12, 1.0
	v_fmac_f32_e32 v12, v13, v12
	v_mul_f32_e32 v13, v11, v12
	v_fma_f32 v15, -v10, v13, v11
	v_fmac_f32_e32 v13, v15, v12
	v_fma_f32 v10, -v10, v13, v11
	v_div_fmas_f32 v10, v10, v12, v13
	v_mov_b32_e32 v12, 0x260
	v_div_fixup_f32 v10, v10, v14, v8
	v_fma_f32 v10, v10, v10, 1.0
	v_mul_f32_e32 v11, 0x4f800000, v10
	v_cmp_gt_f32_e32 vcc, s2, v10
	v_cndmask_b32_e32 v10, v10, v11, vcc
	v_sqrt_f32_e32 v11, v10
	v_add_u32_e32 v13, -1, v11
	v_add_u32_e32 v15, 1, v11
	v_fma_f32 v16, -v13, v11, v10
	v_fma_f32 v17, -v15, v11, v10
	v_cmp_ge_f32_e64 s[2:3], 0, v16
	v_cndmask_b32_e64 v11, v11, v13, s[2:3]
	v_cmp_lt_f32_e64 s[2:3], 0, v17
	v_cndmask_b32_e64 v11, v11, v15, s[2:3]
	v_mul_f32_e32 v13, 0x37800000, v11
	v_cndmask_b32_e32 v11, v11, v13, vcc
	v_cmp_class_f32_e32 vcc, v10, v12
	v_cndmask_b32_e32 v10, v11, v10, vcc
	v_mul_f32_e32 v10, v14, v10
.LBB6_4:
	s_or_b64 exec, exec, s[6:7]
.LBB6_5:
	s_andn2_saveexec_b64 s[4:5], s[4:5]
	s_cbranch_execz .LBB6_7
; %bb.6:
	v_div_scale_f32 v10, s[2:3], v8, v8, v14
	v_div_scale_f32 v11, vcc, v14, v8, v14
	s_mov_b32 s2, 0xf800000
	v_rcp_f32_e32 v12, v10
	v_fma_f32 v13, -v10, v12, 1.0
	v_fmac_f32_e32 v12, v13, v12
	v_mul_f32_e32 v13, v11, v12
	v_fma_f32 v15, -v10, v13, v11
	v_fmac_f32_e32 v13, v15, v12
	v_fma_f32 v10, -v10, v13, v11
	v_div_fmas_f32 v10, v10, v12, v13
	v_mov_b32_e32 v12, 0x260
	v_div_fixup_f32 v10, v10, v8, v14
	v_fma_f32 v10, v10, v10, 1.0
	v_mul_f32_e32 v11, 0x4f800000, v10
	v_cmp_gt_f32_e32 vcc, s2, v10
	v_cndmask_b32_e32 v10, v10, v11, vcc
	v_sqrt_f32_e32 v11, v10
	v_add_u32_e32 v13, -1, v11
	v_add_u32_e32 v15, 1, v11
	v_fma_f32 v16, -v13, v11, v10
	v_fma_f32 v17, -v15, v11, v10
	v_cmp_ge_f32_e64 s[2:3], 0, v16
	v_cndmask_b32_e64 v11, v11, v13, s[2:3]
	v_cmp_lt_f32_e64 s[2:3], 0, v17
	v_cndmask_b32_e64 v11, v11, v15, s[2:3]
	v_mul_f32_e32 v13, 0x37800000, v11
	v_cndmask_b32_e32 v11, v11, v13, vcc
	v_cmp_class_f32_e32 vcc, v10, v12
	v_cndmask_b32_e32 v10, v11, v10, vcc
	v_mul_f32_e32 v10, v8, v10
.LBB6_7:
	s_or_b64 exec, exec, s[4:5]
	s_lshl_b64 s[2:3], s[10:11], 3
	v_mov_b32_e32 v11, s3
	v_add_co_u32_e32 v4, vcc, s2, v4
	v_addc_co_u32_e32 v5, vcc, v5, v11, vcc
	s_lshl_b64 s[2:3], s[18:19], 2
	v_mov_b32_e32 v11, s3
	v_add_co_u32_e32 v6, vcc, s2, v6
	v_addc_co_u32_e32 v7, vcc, v7, v11, vcc
	;; [unrolled: 4-line block ×3, first 2 shown]
	v_cmp_eq_f32_e32 vcc, 0, v10
	s_and_saveexec_b64 s[2:3], vcc
	s_xor_b64 s[2:3], exec, s[2:3]
	s_cbranch_execz .LBB6_9
; %bb.8:
	v_mov_b32_e32 v8, 0
	flat_store_dword v[6:7], v8
	v_mov_b32_e32 v7, 1.0
	flat_store_dwordx2 v[2:3], v[7:8]
	flat_load_dwordx2 v[2:3], v[4:5]
                                        ; implicit-def: $vgpr8_vgpr9
                                        ; implicit-def: $vgpr6_vgpr7
                                        ; implicit-def: $vgpr4_vgpr5
                                        ; implicit-def: $vgpr14
                                        ; implicit-def: $vgpr8
	s_waitcnt vmcnt(0) lgkmcnt(0)
	flat_store_dwordx2 v[0:1], v[2:3]
                                        ; implicit-def: $vgpr2_vgpr3
                                        ; implicit-def: $vgpr0_vgpr1
.LBB6_9:
	s_andn2_saveexec_b64 s[2:3], s[2:3]
	s_cbranch_execz .LBB6_63
; %bb.10:
                                        ; implicit-def: $vgpr12
	s_and_saveexec_b64 s[2:3], s[0:1]
	s_xor_b64 s[2:3], exec, s[2:3]
	s_cbranch_execz .LBB6_14
; %bb.11:
	v_mov_b32_e32 v12, 0
	v_cmp_neq_f32_e32 vcc, 0, v9
	s_and_saveexec_b64 s[4:5], vcc
	s_cbranch_execz .LBB6_13
; %bb.12:
	v_div_scale_f32 v10, s[0:1], v14, v14, v8
	v_div_scale_f32 v11, vcc, v8, v14, v8
	s_mov_b32 s0, 0xf800000
	v_rcp_f32_e32 v12, v10
	v_fma_f32 v13, -v10, v12, 1.0
	v_fmac_f32_e32 v12, v13, v12
	v_mul_f32_e32 v13, v11, v12
	v_fma_f32 v15, -v10, v13, v11
	v_fmac_f32_e32 v13, v15, v12
	v_fma_f32 v10, -v10, v13, v11
	v_div_fmas_f32 v10, v10, v12, v13
	v_mov_b32_e32 v11, 0x260
	v_div_fixup_f32 v8, v10, v14, v8
	v_fma_f32 v8, v8, v8, 1.0
	v_mul_f32_e32 v10, 0x4f800000, v8
	v_cmp_gt_f32_e32 vcc, s0, v8
	v_cndmask_b32_e32 v8, v8, v10, vcc
	v_sqrt_f32_e32 v10, v8
	v_add_u32_e32 v12, -1, v10
	v_add_u32_e32 v13, 1, v10
	v_fma_f32 v15, -v12, v10, v8
	v_fma_f32 v16, -v13, v10, v8
	v_cmp_ge_f32_e64 s[0:1], 0, v15
	v_cndmask_b32_e64 v10, v10, v12, s[0:1]
	v_cmp_lt_f32_e64 s[0:1], 0, v16
	v_cndmask_b32_e64 v10, v10, v13, s[0:1]
	v_mul_f32_e32 v12, 0x37800000, v10
	v_cndmask_b32_e32 v10, v10, v12, vcc
	v_cmp_class_f32_e32 vcc, v8, v11
	v_cndmask_b32_e32 v8, v10, v8, vcc
	v_mul_f32_e32 v12, v14, v8
.LBB6_13:
	s_or_b64 exec, exec, s[4:5]
                                        ; implicit-def: $vgpr8
.LBB6_14:
	s_andn2_saveexec_b64 s[2:3], s[2:3]
	s_cbranch_execz .LBB6_16
; %bb.15:
	v_div_scale_f32 v10, s[0:1], v8, v8, v14
	v_div_scale_f32 v11, vcc, v14, v8, v14
	s_mov_b32 s0, 0xf800000
	v_rcp_f32_e32 v12, v10
	v_fma_f32 v13, -v10, v12, 1.0
	v_fmac_f32_e32 v12, v13, v12
	v_mul_f32_e32 v13, v11, v12
	v_fma_f32 v15, -v10, v13, v11
	v_fmac_f32_e32 v13, v15, v12
	v_fma_f32 v10, -v10, v13, v11
	v_div_fmas_f32 v10, v10, v12, v13
	v_mov_b32_e32 v12, 0x260
	v_div_fixup_f32 v10, v10, v8, v14
	v_fma_f32 v10, v10, v10, 1.0
	v_mul_f32_e32 v11, 0x4f800000, v10
	v_cmp_gt_f32_e32 vcc, s0, v10
	v_cndmask_b32_e32 v10, v10, v11, vcc
	v_sqrt_f32_e32 v11, v10
	v_add_u32_e32 v13, -1, v11
	v_add_u32_e32 v15, 1, v11
	v_fma_f32 v16, -v13, v11, v10
	v_fma_f32 v17, -v15, v11, v10
	v_cmp_ge_f32_e64 s[0:1], 0, v16
	v_cndmask_b32_e64 v11, v11, v13, s[0:1]
	v_cmp_lt_f32_e64 s[0:1], 0, v17
	v_cndmask_b32_e64 v11, v11, v15, s[0:1]
	v_mul_f32_e32 v13, 0x37800000, v11
	v_cndmask_b32_e32 v11, v11, v13, vcc
	v_cmp_class_f32_e32 vcc, v10, v12
	v_cndmask_b32_e32 v10, v11, v10, vcc
	v_mul_f32_e32 v12, v8, v10
.LBB6_16:
	s_or_b64 exec, exec, s[2:3]
	flat_load_dwordx2 v[10:11], v[4:5]
                                        ; implicit-def: $vgpr13
	s_waitcnt vmcnt(0) lgkmcnt(0)
	v_cmp_gt_f32_e32 vcc, 0, v10
	v_cndmask_b32_e64 v8, v10, -v10, vcc
	v_cmp_gt_f32_e32 vcc, 0, v11
	v_cndmask_b32_e64 v10, v11, -v11, vcc
	v_cmp_ngt_f32_e32 vcc, v8, v10
	s_and_saveexec_b64 s[0:1], vcc
	s_xor_b64 s[2:3], exec, s[0:1]
	s_cbranch_execz .LBB6_20
; %bb.17:
	v_mov_b32_e32 v13, 0
	v_cmp_neq_f32_e32 vcc, 0, v11
	s_and_saveexec_b64 s[4:5], vcc
	s_cbranch_execz .LBB6_19
; %bb.18:
	v_div_scale_f32 v11, s[0:1], v10, v10, v8
	v_div_scale_f32 v13, vcc, v8, v10, v8
	s_mov_b32 s0, 0xf800000
	v_rcp_f32_e32 v15, v11
	v_fma_f32 v16, -v11, v15, 1.0
	v_fmac_f32_e32 v15, v16, v15
	v_mul_f32_e32 v16, v13, v15
	v_fma_f32 v17, -v11, v16, v13
	v_fmac_f32_e32 v16, v17, v15
	v_fma_f32 v11, -v11, v16, v13
	v_div_fmas_f32 v11, v11, v15, v16
	v_mov_b32_e32 v13, 0x260
	v_div_fixup_f32 v8, v11, v10, v8
	v_fma_f32 v8, v8, v8, 1.0
	v_mul_f32_e32 v11, 0x4f800000, v8
	v_cmp_gt_f32_e32 vcc, s0, v8
	v_cndmask_b32_e32 v8, v8, v11, vcc
	v_sqrt_f32_e32 v11, v8
	v_add_u32_e32 v15, -1, v11
	v_add_u32_e32 v16, 1, v11
	v_fma_f32 v17, -v15, v11, v8
	v_fma_f32 v18, -v16, v11, v8
	v_cmp_ge_f32_e64 s[0:1], 0, v17
	v_cndmask_b32_e64 v11, v11, v15, s[0:1]
	v_cmp_lt_f32_e64 s[0:1], 0, v18
	v_cndmask_b32_e64 v11, v11, v16, s[0:1]
	v_mul_f32_e32 v15, 0x37800000, v11
	v_cndmask_b32_e32 v11, v11, v15, vcc
	v_cmp_class_f32_e32 vcc, v8, v13
	v_cndmask_b32_e32 v8, v11, v8, vcc
	v_mul_f32_e32 v13, v10, v8
.LBB6_19:
	s_or_b64 exec, exec, s[4:5]
                                        ; implicit-def: $vgpr8
                                        ; implicit-def: $vgpr10
.LBB6_20:
	s_andn2_saveexec_b64 s[2:3], s[2:3]
	s_cbranch_execz .LBB6_22
; %bb.21:
	v_div_scale_f32 v11, s[0:1], v8, v8, v10
	v_div_scale_f32 v13, vcc, v10, v8, v10
	s_mov_b32 s0, 0xf800000
	v_rcp_f32_e32 v15, v11
	v_fma_f32 v16, -v11, v15, 1.0
	v_fmac_f32_e32 v15, v16, v15
	v_mul_f32_e32 v16, v13, v15
	v_fma_f32 v17, -v11, v16, v13
	v_fmac_f32_e32 v16, v17, v15
	v_fma_f32 v11, -v11, v16, v13
	v_div_fmas_f32 v11, v11, v15, v16
	v_mov_b32_e32 v13, 0x260
	v_div_fixup_f32 v10, v11, v8, v10
	v_fma_f32 v10, v10, v10, 1.0
	v_mul_f32_e32 v11, 0x4f800000, v10
	v_cmp_gt_f32_e32 vcc, s0, v10
	v_cndmask_b32_e32 v10, v10, v11, vcc
	v_sqrt_f32_e32 v11, v10
	v_add_u32_e32 v15, -1, v11
	v_add_u32_e32 v16, 1, v11
	v_fma_f32 v17, -v15, v11, v10
	v_fma_f32 v18, -v16, v11, v10
	v_cmp_ge_f32_e64 s[0:1], 0, v17
	v_cndmask_b32_e64 v11, v11, v15, s[0:1]
	v_cmp_lt_f32_e64 s[0:1], 0, v18
	v_cndmask_b32_e64 v11, v11, v16, s[0:1]
	v_mul_f32_e32 v15, 0x37800000, v11
	v_cndmask_b32_e32 v11, v11, v15, vcc
	v_cmp_class_f32_e32 vcc, v10, v13
	v_cndmask_b32_e32 v10, v11, v10, vcc
	v_mul_f32_e32 v13, v8, v10
.LBB6_22:
	s_or_b64 exec, exec, s[2:3]
	flat_load_dwordx2 v[10:11], v[0:1]
	v_add_f32_e32 v8, v12, v13
	v_cmp_nlg_f32_e64 s[0:1], 0, v8
                                        ; implicit-def: $vgpr12
                                        ; implicit-def: $vgpr16
	s_and_saveexec_b64 s[2:3], s[0:1]
	s_xor_b64 s[2:3], exec, s[2:3]
	s_cbranch_execz .LBB6_24
; %bb.23:
	v_div_scale_f32 v12, s[4:5], 0, 0, v8
	v_div_scale_f32 v13, vcc, v8, 0, v8
	v_rcp_f32_e32 v15, v12
	v_fma_f32 v16, -v12, v15, 1.0
	v_fmac_f32_e32 v15, v16, v15
	v_mul_f32_e32 v16, v13, v15
	v_fma_f32 v17, -v12, v16, v13
	v_fmac_f32_e32 v16, v17, v15
	v_fma_f32 v12, -v12, v16, v13
	v_div_fmas_f32 v12, v12, v15, v16
	v_div_fixup_f32 v12, v12, 0, v8
	v_fma_f32 v13, v8, v12, 0
	v_div_scale_f32 v15, s[4:5], v13, v13, 1.0
	v_div_scale_f32 v16, vcc, 1.0, v13, 1.0
	v_rcp_f32_e32 v17, v15
	v_fma_f32 v18, -v15, v17, 1.0
	v_fmac_f32_e32 v17, v18, v17
	v_mul_f32_e32 v18, v16, v17
	v_fma_f32 v19, -v15, v18, v16
	v_fmac_f32_e32 v18, v19, v17
	v_fma_f32 v15, -v15, v18, v16
	v_div_fmas_f32 v15, v15, v17, v18
	s_waitcnt vmcnt(0) lgkmcnt(0)
	v_fma_f32 v16, v12, v10, v11
	v_fma_f32 v17, v12, v11, -v10
	v_div_fixup_f32 v13, v15, v13, 1.0
	v_mul_f32_e32 v12, v16, v13
	v_mul_f32_e32 v16, v13, v17
.LBB6_24:
	s_andn2_saveexec_b64 s[2:3], s[2:3]
	s_cbranch_execz .LBB6_26
; %bb.25:
	v_div_scale_f32 v12, s[4:5], v8, v8, 0
	v_div_scale_f32 v13, vcc, 0, v8, 0
	v_rcp_f32_e32 v15, v12
	v_fma_f32 v16, -v12, v15, 1.0
	v_fmac_f32_e32 v15, v16, v15
	v_mul_f32_e32 v16, v13, v15
	v_fma_f32 v17, -v12, v16, v13
	v_fmac_f32_e32 v16, v17, v15
	v_fma_f32 v12, -v12, v16, v13
	v_div_fmas_f32 v12, v12, v15, v16
	v_div_fixup_f32 v12, v12, v8, 0
	v_fma_f32 v13, 0, v12, v8
	v_div_scale_f32 v15, s[4:5], v13, v13, 1.0
	v_div_scale_f32 v16, vcc, 1.0, v13, 1.0
	v_rcp_f32_e32 v17, v15
	v_fma_f32 v18, -v15, v17, 1.0
	v_fmac_f32_e32 v17, v18, v17
	v_mul_f32_e32 v18, v16, v17
	v_fma_f32 v19, -v15, v18, v16
	v_fmac_f32_e32 v18, v19, v17
	v_fma_f32 v15, -v15, v18, v16
	v_div_fmas_f32 v15, v15, v17, v18
	s_waitcnt vmcnt(0) lgkmcnt(0)
	v_fma_f32 v16, v12, v11, v10
	v_fma_f32 v17, -v12, v10, v11
	v_div_fixup_f32 v13, v15, v13, 1.0
	v_mul_f32_e32 v12, v13, v16
	v_mul_f32_e32 v16, v17, v13
.LBB6_26:
	s_or_b64 exec, exec, s[2:3]
	v_cmp_gt_f32_e32 vcc, 0, v12
	v_cndmask_b32_e64 v12, v12, -v12, vcc
	v_cmp_gt_f32_e32 vcc, 0, v16
	v_cndmask_b32_e64 v13, v16, -v16, vcc
	v_cmp_ngt_f32_e32 vcc, v12, v13
                                        ; implicit-def: $vgpr15
	s_and_saveexec_b64 s[2:3], vcc
	s_xor_b64 s[4:5], exec, s[2:3]
	s_cbranch_execz .LBB6_30
; %bb.27:
	v_mov_b32_e32 v15, 0
	v_cmp_neq_f32_e32 vcc, 0, v16
	s_and_saveexec_b64 s[6:7], vcc
	s_cbranch_execz .LBB6_29
; %bb.28:
	v_div_scale_f32 v15, s[2:3], v13, v13, v12
	v_div_scale_f32 v16, vcc, v12, v13, v12
	s_mov_b32 s2, 0xf800000
	v_rcp_f32_e32 v17, v15
	v_fma_f32 v18, -v15, v17, 1.0
	v_fmac_f32_e32 v17, v18, v17
	v_mul_f32_e32 v18, v16, v17
	v_fma_f32 v19, -v15, v18, v16
	v_fmac_f32_e32 v18, v19, v17
	v_fma_f32 v15, -v15, v18, v16
	v_div_fmas_f32 v15, v15, v17, v18
	v_mov_b32_e32 v16, 0x260
	v_div_fixup_f32 v12, v15, v13, v12
	v_fma_f32 v12, v12, v12, 1.0
	v_mul_f32_e32 v15, 0x4f800000, v12
	v_cmp_gt_f32_e32 vcc, s2, v12
	v_cndmask_b32_e32 v12, v12, v15, vcc
	v_sqrt_f32_e32 v15, v12
	v_add_u32_e32 v17, -1, v15
	v_add_u32_e32 v18, 1, v15
	v_fma_f32 v19, -v17, v15, v12
	v_fma_f32 v20, -v18, v15, v12
	v_cmp_ge_f32_e64 s[2:3], 0, v19
	v_cndmask_b32_e64 v15, v15, v17, s[2:3]
	v_cmp_lt_f32_e64 s[2:3], 0, v20
	v_cndmask_b32_e64 v15, v15, v18, s[2:3]
	v_mul_f32_e32 v17, 0x37800000, v15
	v_cndmask_b32_e32 v15, v15, v17, vcc
	v_cmp_class_f32_e32 vcc, v12, v16
	v_cndmask_b32_e32 v12, v15, v12, vcc
	v_mul_f32_e32 v15, v13, v12
.LBB6_29:
	s_or_b64 exec, exec, s[6:7]
                                        ; implicit-def: $vgpr12
                                        ; implicit-def: $vgpr13
.LBB6_30:
	s_andn2_saveexec_b64 s[4:5], s[4:5]
	s_cbranch_execz .LBB6_32
; %bb.31:
	v_div_scale_f32 v15, s[2:3], v12, v12, v13
	v_div_scale_f32 v16, vcc, v13, v12, v13
	s_mov_b32 s2, 0xf800000
	v_rcp_f32_e32 v17, v15
	v_fma_f32 v18, -v15, v17, 1.0
	v_fmac_f32_e32 v17, v18, v17
	v_mul_f32_e32 v18, v16, v17
	v_fma_f32 v19, -v15, v18, v16
	v_fmac_f32_e32 v18, v19, v17
	v_fma_f32 v15, -v15, v18, v16
	v_div_fmas_f32 v15, v15, v17, v18
	v_mov_b32_e32 v16, 0x260
	v_div_fixup_f32 v13, v15, v12, v13
	v_fma_f32 v13, v13, v13, 1.0
	v_mul_f32_e32 v15, 0x4f800000, v13
	v_cmp_gt_f32_e32 vcc, s2, v13
	v_cndmask_b32_e32 v13, v13, v15, vcc
	v_sqrt_f32_e32 v15, v13
	v_add_u32_e32 v17, -1, v15
	v_add_u32_e32 v18, 1, v15
	v_fma_f32 v19, -v17, v15, v13
	v_fma_f32 v20, -v18, v15, v13
	v_cmp_ge_f32_e64 s[2:3], 0, v19
	v_cndmask_b32_e64 v15, v15, v17, s[2:3]
	v_cmp_lt_f32_e64 s[2:3], 0, v20
	v_cndmask_b32_e64 v15, v15, v18, s[2:3]
	v_mul_f32_e32 v17, 0x37800000, v15
	v_cndmask_b32_e32 v15, v15, v17, vcc
	v_cmp_class_f32_e32 vcc, v13, v16
	v_cndmask_b32_e32 v13, v15, v13, vcc
	v_mul_f32_e32 v15, v12, v13
.LBB6_32:
	s_or_b64 exec, exec, s[4:5]
	flat_load_dwordx2 v[12:13], v[4:5]
                                        ; implicit-def: $vgpr16
                                        ; implicit-def: $vgpr17
	s_and_saveexec_b64 s[2:3], s[0:1]
	s_xor_b64 s[0:1], exec, s[2:3]
	s_cbranch_execz .LBB6_34
; %bb.33:
	v_div_scale_f32 v16, s[2:3], 0, 0, v8
	v_div_scale_f32 v17, vcc, v8, 0, v8
	v_rcp_f32_e32 v18, v16
	v_fma_f32 v19, -v16, v18, 1.0
	v_fmac_f32_e32 v18, v19, v18
	v_mul_f32_e32 v19, v17, v18
	v_fma_f32 v20, -v16, v19, v17
	v_fmac_f32_e32 v19, v20, v18
	v_fma_f32 v16, -v16, v19, v17
	v_div_fmas_f32 v16, v16, v18, v19
	v_div_fixup_f32 v16, v16, 0, v8
	v_fma_f32 v17, v8, v16, 0
	v_div_scale_f32 v18, s[2:3], v17, v17, 1.0
	v_div_scale_f32 v19, vcc, 1.0, v17, 1.0
	v_rcp_f32_e32 v20, v18
	v_fma_f32 v21, -v18, v20, 1.0
	v_fmac_f32_e32 v20, v21, v20
	v_mul_f32_e32 v21, v19, v20
	v_fma_f32 v22, -v18, v21, v19
	v_fmac_f32_e32 v21, v22, v20
	v_fma_f32 v18, -v18, v21, v19
	v_div_fmas_f32 v18, v18, v20, v21
	s_waitcnt vmcnt(0) lgkmcnt(0)
	v_fma_f32 v19, v16, v12, v13
	v_fma_f32 v12, v16, v13, -v12
	v_div_fixup_f32 v13, v18, v17, 1.0
	v_mul_f32_e32 v16, v13, v19
	v_mul_f32_e32 v17, v13, v12
                                        ; implicit-def: $vgpr12_vgpr13
.LBB6_34:
	s_andn2_saveexec_b64 s[0:1], s[0:1]
	s_cbranch_execz .LBB6_36
; %bb.35:
	v_div_scale_f32 v16, s[2:3], v8, v8, 0
	v_div_scale_f32 v17, vcc, 0, v8, 0
	v_rcp_f32_e32 v18, v16
	v_fma_f32 v19, -v16, v18, 1.0
	v_fmac_f32_e32 v18, v19, v18
	v_mul_f32_e32 v19, v17, v18
	v_fma_f32 v20, -v16, v19, v17
	v_fmac_f32_e32 v19, v20, v18
	v_fma_f32 v16, -v16, v19, v17
	v_div_fmas_f32 v16, v16, v18, v19
	v_div_fixup_f32 v16, v16, v8, 0
	v_fma_f32 v17, 0, v16, v8
	v_div_scale_f32 v18, s[2:3], v17, v17, 1.0
	v_div_scale_f32 v19, vcc, 1.0, v17, 1.0
	v_rcp_f32_e32 v20, v18
	v_fma_f32 v21, -v18, v20, 1.0
	v_fmac_f32_e32 v20, v21, v20
	v_mul_f32_e32 v21, v19, v20
	v_fma_f32 v22, -v18, v21, v19
	v_fmac_f32_e32 v21, v22, v20
	v_fma_f32 v18, -v18, v21, v19
	v_div_fmas_f32 v18, v18, v20, v21
	s_waitcnt vmcnt(0) lgkmcnt(0)
	v_fma_f32 v19, v16, v13, v12
	v_fma_f32 v12, -v16, v12, v13
	v_div_fixup_f32 v13, v18, v17, 1.0
	v_mul_f32_e32 v16, v13, v19
	v_mul_f32_e32 v17, v13, v12
.LBB6_36:
	s_or_b64 exec, exec, s[0:1]
	v_cmp_gt_f32_e32 vcc, 0, v16
	s_waitcnt vmcnt(0) lgkmcnt(0)
	v_cndmask_b32_e64 v13, v16, -v16, vcc
	v_cmp_gt_f32_e32 vcc, 0, v17
	v_cndmask_b32_e64 v16, v17, -v17, vcc
	v_cmp_ngt_f32_e32 vcc, v13, v16
                                        ; implicit-def: $vgpr12
	s_and_saveexec_b64 s[0:1], vcc
	s_xor_b64 s[2:3], exec, s[0:1]
	s_cbranch_execz .LBB6_40
; %bb.37:
	v_mov_b32_e32 v12, 0
	v_cmp_neq_f32_e32 vcc, 0, v17
	s_and_saveexec_b64 s[4:5], vcc
	s_cbranch_execz .LBB6_39
; %bb.38:
	v_div_scale_f32 v12, s[0:1], v16, v16, v13
	v_div_scale_f32 v17, vcc, v13, v16, v13
	s_mov_b32 s0, 0xf800000
	v_rcp_f32_e32 v18, v12
	v_fma_f32 v19, -v12, v18, 1.0
	v_fmac_f32_e32 v18, v19, v18
	v_mul_f32_e32 v19, v17, v18
	v_fma_f32 v20, -v12, v19, v17
	v_fmac_f32_e32 v19, v20, v18
	v_fma_f32 v12, -v12, v19, v17
	v_div_fmas_f32 v12, v12, v18, v19
	v_mov_b32_e32 v17, 0x260
	v_div_fixup_f32 v12, v12, v16, v13
	v_fma_f32 v12, v12, v12, 1.0
	v_mul_f32_e32 v13, 0x4f800000, v12
	v_cmp_gt_f32_e32 vcc, s0, v12
	v_cndmask_b32_e32 v12, v12, v13, vcc
	v_sqrt_f32_e32 v13, v12
	v_add_u32_e32 v18, -1, v13
	v_add_u32_e32 v19, 1, v13
	v_fma_f32 v20, -v18, v13, v12
	v_fma_f32 v21, -v19, v13, v12
	v_cmp_ge_f32_e64 s[0:1], 0, v20
	v_cndmask_b32_e64 v13, v13, v18, s[0:1]
	v_cmp_lt_f32_e64 s[0:1], 0, v21
	v_cndmask_b32_e64 v13, v13, v19, s[0:1]
	v_mul_f32_e32 v18, 0x37800000, v13
	v_cndmask_b32_e32 v13, v13, v18, vcc
	v_cmp_class_f32_e32 vcc, v12, v17
	v_cndmask_b32_e32 v12, v13, v12, vcc
	v_mul_f32_e32 v12, v16, v12
.LBB6_39:
	s_or_b64 exec, exec, s[4:5]
                                        ; implicit-def: $vgpr13
                                        ; implicit-def: $vgpr16
.LBB6_40:
	s_andn2_saveexec_b64 s[2:3], s[2:3]
	s_cbranch_execz .LBB6_42
; %bb.41:
	v_div_scale_f32 v12, s[0:1], v13, v13, v16
	v_div_scale_f32 v17, vcc, v16, v13, v16
	s_mov_b32 s0, 0xf800000
	v_rcp_f32_e32 v18, v12
	v_fma_f32 v19, -v12, v18, 1.0
	v_fmac_f32_e32 v18, v19, v18
	v_mul_f32_e32 v19, v17, v18
	v_fma_f32 v20, -v12, v19, v17
	v_fmac_f32_e32 v19, v20, v18
	v_fma_f32 v12, -v12, v19, v17
	v_div_fmas_f32 v12, v12, v18, v19
	v_mov_b32_e32 v17, 0x260
	v_div_fixup_f32 v12, v12, v13, v16
	v_fma_f32 v12, v12, v12, 1.0
	v_mul_f32_e32 v16, 0x4f800000, v12
	v_cmp_gt_f32_e32 vcc, s0, v12
	v_cndmask_b32_e32 v12, v12, v16, vcc
	v_sqrt_f32_e32 v16, v12
	v_add_u32_e32 v18, -1, v16
	v_add_u32_e32 v19, 1, v16
	v_fma_f32 v20, -v18, v16, v12
	v_fma_f32 v21, -v19, v16, v12
	v_cmp_ge_f32_e64 s[0:1], 0, v20
	v_cndmask_b32_e64 v16, v16, v18, s[0:1]
	v_cmp_lt_f32_e64 s[0:1], 0, v21
	v_cndmask_b32_e64 v16, v16, v19, s[0:1]
	v_mul_f32_e32 v18, 0x37800000, v16
	v_cndmask_b32_e32 v16, v16, v18, vcc
	v_cmp_class_f32_e32 vcc, v12, v17
	v_cndmask_b32_e32 v12, v16, v12, vcc
	v_mul_f32_e32 v12, v13, v12
.LBB6_42:
	s_or_b64 exec, exec, s[2:3]
	v_cmp_gt_f32_e32 vcc, 0, v10
	v_cndmask_b32_e64 v13, v10, -v10, vcc
	v_cmp_ngt_f32_e64 s[0:1], v13, v14
                                        ; implicit-def: $vgpr18
	s_and_saveexec_b64 s[2:3], s[0:1]
	s_xor_b64 s[4:5], exec, s[2:3]
	s_cbranch_execz .LBB6_46
; %bb.43:
	v_mov_b32_e32 v18, 0
	v_cmp_neq_f32_e32 vcc, 0, v9
	s_and_saveexec_b64 s[6:7], vcc
	s_cbranch_execz .LBB6_45
; %bb.44:
	v_div_scale_f32 v16, s[2:3], v14, v14, v13
	v_div_scale_f32 v17, vcc, v13, v14, v13
	s_mov_b32 s2, 0xf800000
	v_rcp_f32_e32 v18, v16
	v_fma_f32 v19, -v16, v18, 1.0
	v_fmac_f32_e32 v18, v19, v18
	v_mul_f32_e32 v19, v17, v18
	v_fma_f32 v20, -v16, v19, v17
	v_fmac_f32_e32 v19, v20, v18
	v_fma_f32 v16, -v16, v19, v17
	v_div_fmas_f32 v16, v16, v18, v19
	v_mov_b32_e32 v18, 0x260
	v_div_fixup_f32 v16, v16, v14, v13
	v_fma_f32 v16, v16, v16, 1.0
	v_mul_f32_e32 v17, 0x4f800000, v16
	v_cmp_gt_f32_e32 vcc, s2, v16
	v_cndmask_b32_e32 v16, v16, v17, vcc
	v_sqrt_f32_e32 v17, v16
	v_add_u32_e32 v19, -1, v17
	v_add_u32_e32 v20, 1, v17
	v_fma_f32 v21, -v19, v17, v16
	v_fma_f32 v22, -v20, v17, v16
	v_cmp_ge_f32_e64 s[2:3], 0, v21
	v_cndmask_b32_e64 v17, v17, v19, s[2:3]
	v_cmp_lt_f32_e64 s[2:3], 0, v22
	v_cndmask_b32_e64 v17, v17, v20, s[2:3]
	v_mul_f32_e32 v19, 0x37800000, v17
	v_cndmask_b32_e32 v17, v17, v19, vcc
	v_cmp_class_f32_e32 vcc, v16, v18
	v_cndmask_b32_e32 v16, v17, v16, vcc
	v_mul_f32_e32 v18, v14, v16
.LBB6_45:
	s_or_b64 exec, exec, s[6:7]
.LBB6_46:
	s_andn2_saveexec_b64 s[4:5], s[4:5]
	s_cbranch_execz .LBB6_48
; %bb.47:
	v_div_scale_f32 v16, s[2:3], v13, v13, v14
	v_div_scale_f32 v17, vcc, v14, v13, v14
	s_mov_b32 s2, 0xf800000
	v_rcp_f32_e32 v18, v16
	v_fma_f32 v19, -v16, v18, 1.0
	v_fmac_f32_e32 v18, v19, v18
	v_mul_f32_e32 v19, v17, v18
	v_fma_f32 v20, -v16, v19, v17
	v_fmac_f32_e32 v19, v20, v18
	v_fma_f32 v16, -v16, v19, v17
	v_div_fmas_f32 v16, v16, v18, v19
	v_mov_b32_e32 v18, 0x260
	v_div_fixup_f32 v16, v16, v13, v14
	v_fma_f32 v16, v16, v16, 1.0
	v_mul_f32_e32 v17, 0x4f800000, v16
	v_cmp_gt_f32_e32 vcc, s2, v16
	v_cndmask_b32_e32 v16, v16, v17, vcc
	v_sqrt_f32_e32 v17, v16
	v_add_u32_e32 v19, -1, v17
	v_add_u32_e32 v20, 1, v17
	v_fma_f32 v21, -v19, v17, v16
	v_fma_f32 v22, -v20, v17, v16
	v_cmp_ge_f32_e64 s[2:3], 0, v21
	v_cndmask_b32_e64 v17, v17, v19, s[2:3]
	v_cmp_lt_f32_e64 s[2:3], 0, v22
	v_cndmask_b32_e64 v17, v17, v20, s[2:3]
	v_mul_f32_e32 v19, 0x37800000, v17
	v_cndmask_b32_e32 v17, v17, v19, vcc
	v_cmp_class_f32_e32 vcc, v16, v18
	v_cndmask_b32_e32 v16, v17, v16, vcc
	v_mul_f32_e32 v18, v13, v16
.LBB6_48:
	s_or_b64 exec, exec, s[4:5]
	v_cmp_lg_f32_e32 vcc, 0, v18
                                        ; implicit-def: $vgpr16
                                        ; implicit-def: $vgpr17
	s_and_saveexec_b64 s[2:3], vcc
	s_xor_b64 s[2:3], exec, s[2:3]
	s_cbranch_execz .LBB6_50
; %bb.49:
	v_div_scale_f32 v16, s[4:5], v18, v18, 0
	v_div_scale_f32 v17, vcc, 0, v18, 0
	v_rcp_f32_e32 v19, v16
	v_fma_f32 v20, -v16, v19, 1.0
	v_fmac_f32_e32 v19, v20, v19
	v_mul_f32_e32 v20, v17, v19
	v_fma_f32 v21, -v16, v20, v17
	v_fmac_f32_e32 v20, v21, v19
	v_fma_f32 v16, -v16, v20, v17
	v_div_fmas_f32 v16, v16, v19, v20
	v_div_fixup_f32 v16, v16, v18, 0
	v_fmac_f32_e32 v18, 0, v16
	v_div_scale_f32 v17, s[4:5], v18, v18, 1.0
	v_div_scale_f32 v19, vcc, 1.0, v18, 1.0
	v_rcp_f32_e32 v20, v17
	v_fma_f32 v21, -v17, v20, 1.0
	v_fmac_f32_e32 v20, v21, v20
	v_mul_f32_e32 v21, v19, v20
	v_fma_f32 v22, -v17, v21, v19
	v_fmac_f32_e32 v21, v22, v20
	v_fma_f32 v17, -v17, v21, v19
	v_div_fmas_f32 v17, v17, v20, v21
	v_fma_f32 v19, v16, v11, v10
	v_fma_f32 v10, -v16, v10, v11
	v_div_fixup_f32 v11, v17, v18, 1.0
	v_mul_f32_e32 v16, v19, v11
	v_mul_f32_e32 v17, v10, v11
                                        ; implicit-def: $vgpr18
                                        ; implicit-def: $vgpr10_vgpr11
	s_andn2_saveexec_b64 s[2:3], s[2:3]
	s_cbranch_execz .LBB6_52
	s_branch .LBB6_51
.LBB6_50:
	s_andn2_saveexec_b64 s[2:3], s[2:3]
	s_cbranch_execz .LBB6_52
.LBB6_51:
	v_div_scale_f32 v16, s[4:5], 0, 0, v18
	v_div_scale_f32 v17, vcc, v18, 0, v18
	v_rcp_f32_e32 v19, v16
	v_fma_f32 v20, -v16, v19, 1.0
	v_fmac_f32_e32 v19, v20, v19
	v_mul_f32_e32 v20, v17, v19
	v_fma_f32 v21, -v16, v20, v17
	v_fmac_f32_e32 v20, v21, v19
	v_fma_f32 v16, -v16, v20, v17
	v_div_fmas_f32 v16, v16, v19, v20
	v_div_fixup_f32 v16, v16, 0, v18
	v_fma_f32 v17, v18, v16, 0
	v_div_scale_f32 v18, s[4:5], v17, v17, 1.0
	v_div_scale_f32 v19, vcc, 1.0, v17, 1.0
	v_rcp_f32_e32 v20, v18
	v_fma_f32 v21, -v18, v20, 1.0
	v_fmac_f32_e32 v20, v21, v20
	v_mul_f32_e32 v21, v19, v20
	v_fma_f32 v22, -v18, v21, v19
	v_fmac_f32_e32 v21, v22, v20
	v_fma_f32 v18, -v18, v21, v19
	v_div_fmas_f32 v18, v18, v20, v21
	v_fma_f32 v19, v16, v10, v11
	v_fma_f32 v10, v16, v11, -v10
	v_div_fixup_f32 v11, v18, v17, 1.0
	v_mul_f32_e32 v16, v19, v11
	v_mul_f32_e32 v17, v10, v11
.LBB6_52:
	s_or_b64 exec, exec, s[2:3]
                                        ; implicit-def: $vgpr10
	s_and_saveexec_b64 s[2:3], s[0:1]
	s_xor_b64 s[2:3], exec, s[2:3]
	s_cbranch_execz .LBB6_56
; %bb.53:
	v_mov_b32_e32 v10, 0
	v_cmp_neq_f32_e32 vcc, 0, v9
	s_and_saveexec_b64 s[4:5], vcc
	s_cbranch_execz .LBB6_55
; %bb.54:
	v_div_scale_f32 v9, s[0:1], v14, v14, v13
	v_div_scale_f32 v10, vcc, v13, v14, v13
	s_mov_b32 s0, 0xf800000
	v_rcp_f32_e32 v11, v9
	v_fma_f32 v18, -v9, v11, 1.0
	v_fmac_f32_e32 v11, v18, v11
	v_mul_f32_e32 v18, v10, v11
	v_fma_f32 v19, -v9, v18, v10
	v_fmac_f32_e32 v18, v19, v11
	v_fma_f32 v9, -v9, v18, v10
	v_div_fmas_f32 v9, v9, v11, v18
	v_mov_b32_e32 v11, 0x260
	v_div_fixup_f32 v9, v9, v14, v13
	v_fma_f32 v9, v9, v9, 1.0
	v_mul_f32_e32 v10, 0x4f800000, v9
	v_cmp_gt_f32_e32 vcc, s0, v9
	v_cndmask_b32_e32 v9, v9, v10, vcc
	v_sqrt_f32_e32 v10, v9
	v_add_u32_e32 v13, -1, v10
	v_add_u32_e32 v18, 1, v10
	v_fma_f32 v19, -v13, v10, v9
	v_fma_f32 v20, -v18, v10, v9
	v_cmp_ge_f32_e64 s[0:1], 0, v19
	v_cndmask_b32_e64 v10, v10, v13, s[0:1]
	v_cmp_lt_f32_e64 s[0:1], 0, v20
	v_cndmask_b32_e64 v10, v10, v18, s[0:1]
	v_mul_f32_e32 v13, 0x37800000, v10
	v_cndmask_b32_e32 v10, v10, v13, vcc
	v_cmp_class_f32_e32 vcc, v9, v11
	v_cndmask_b32_e32 v9, v10, v9, vcc
	v_mul_f32_e32 v10, v14, v9
.LBB6_55:
	s_or_b64 exec, exec, s[4:5]
                                        ; implicit-def: $vgpr13
                                        ; implicit-def: $vgpr14
	s_andn2_saveexec_b64 s[2:3], s[2:3]
	s_cbranch_execnz .LBB6_57
	s_branch .LBB6_58
.LBB6_56:
	s_andn2_saveexec_b64 s[2:3], s[2:3]
	s_cbranch_execz .LBB6_58
.LBB6_57:
	v_div_scale_f32 v9, s[0:1], v13, v13, v14
	v_div_scale_f32 v10, vcc, v14, v13, v14
	s_mov_b32 s0, 0xf800000
	v_rcp_f32_e32 v11, v9
	v_fma_f32 v18, -v9, v11, 1.0
	v_fmac_f32_e32 v11, v18, v11
	v_mul_f32_e32 v18, v10, v11
	v_fma_f32 v19, -v9, v18, v10
	v_fmac_f32_e32 v18, v19, v11
	v_fma_f32 v9, -v9, v18, v10
	v_div_fmas_f32 v9, v9, v11, v18
	v_mov_b32_e32 v11, 0x260
	v_div_fixup_f32 v9, v9, v13, v14
	v_fma_f32 v9, v9, v9, 1.0
	v_mul_f32_e32 v10, 0x4f800000, v9
	v_cmp_gt_f32_e32 vcc, s0, v9
	v_cndmask_b32_e32 v9, v9, v10, vcc
	v_sqrt_f32_e32 v10, v9
	v_add_u32_e32 v14, -1, v10
	v_add_u32_e32 v18, 1, v10
	v_fma_f32 v19, -v14, v10, v9
	v_fma_f32 v20, -v18, v10, v9
	v_cmp_ge_f32_e64 s[0:1], 0, v19
	v_cndmask_b32_e64 v10, v10, v14, s[0:1]
	v_cmp_lt_f32_e64 s[0:1], 0, v20
	v_cndmask_b32_e64 v10, v10, v18, s[0:1]
	v_mul_f32_e32 v14, 0x37800000, v10
	v_cndmask_b32_e32 v10, v10, v14, vcc
	v_cmp_class_f32_e32 vcc, v9, v11
	v_cndmask_b32_e32 v9, v10, v9, vcc
	v_mul_f32_e32 v10, v13, v9
.LBB6_58:
	s_or_b64 exec, exec, s[2:3]
	v_mul_f32_e32 v9, v12, v12
	v_fmac_f32_e32 v9, v15, v15
	s_mov_b32 s0, 0xf800000
	v_mul_f32_e32 v11, 0x4f800000, v9
	v_cmp_gt_f32_e32 vcc, s0, v9
	v_cndmask_b32_e32 v9, v9, v11, vcc
	v_sqrt_f32_e32 v11, v9
	v_add_u32_e32 v12, -1, v11
	v_fma_f32 v13, -v12, v11, v9
	v_cmp_ge_f32_e64 s[0:1], 0, v13
	v_add_u32_e32 v13, 1, v11
	v_cndmask_b32_e64 v12, v11, v12, s[0:1]
	v_fma_f32 v11, -v13, v11, v9
	v_cmp_lt_f32_e64 s[0:1], 0, v11
	v_cndmask_b32_e64 v11, v12, v13, s[0:1]
	v_mul_f32_e32 v12, 0x37800000, v11
	v_cndmask_b32_e32 v11, v11, v12, vcc
	v_mov_b32_e32 v12, 0x260
	v_cmp_class_f32_e32 vcc, v9, v12
	v_cndmask_b32_e32 v9, v11, v9, vcc
	v_mul_f32_e32 v8, v8, v9
	v_div_scale_f32 v9, s[0:1], v8, v8, v10
	v_div_scale_f32 v11, vcc, v10, v8, v10
	v_rcp_f32_e32 v12, v9
	v_fma_f32 v13, -v9, v12, 1.0
	v_fmac_f32_e32 v12, v13, v12
	v_mul_f32_e32 v13, v11, v12
	v_fma_f32 v14, -v9, v13, v11
	v_fmac_f32_e32 v13, v14, v12
	v_fma_f32 v9, -v9, v13, v11
	v_div_fmas_f32 v9, v9, v12, v13
	v_cmp_lg_f32_e32 vcc, 0, v8
	v_div_fixup_f32 v9, v9, v8, v10
	flat_store_dword v[6:7], v9
	flat_load_dwordx2 v[4:5], v[4:5]
	s_waitcnt vmcnt(0) lgkmcnt(0)
	v_mul_f32_e32 v6, v17, v5
	v_mul_f32_e32 v5, v16, v5
	v_fmac_f32_e32 v6, v16, v4
	v_fma_f32 v7, v17, v4, -v5
                                        ; implicit-def: $vgpr4
	s_and_saveexec_b64 s[0:1], vcc
	s_xor_b64 s[0:1], exec, s[0:1]
	s_cbranch_execz .LBB6_60
; %bb.59:
	v_div_scale_f32 v4, s[2:3], v8, v8, 0
	v_div_scale_f32 v5, vcc, 0, v8, 0
	v_rcp_f32_e32 v9, v4
	v_fma_f32 v10, -v4, v9, 1.0
	v_fmac_f32_e32 v9, v10, v9
	v_mul_f32_e32 v10, v5, v9
	v_fma_f32 v11, -v4, v10, v5
	v_fmac_f32_e32 v10, v11, v9
	v_fma_f32 v4, -v4, v10, v5
	v_div_fmas_f32 v4, v4, v9, v10
	v_div_fixup_f32 v4, v4, v8, 0
	v_fma_f32 v5, 0, v4, v8
	v_div_scale_f32 v9, s[2:3], v5, v5, 1.0
	v_div_scale_f32 v10, vcc, 1.0, v5, 1.0
	v_rcp_f32_e32 v11, v9
	v_fma_f32 v12, -v9, v11, 1.0
	v_fmac_f32_e32 v11, v12, v11
	v_mul_f32_e32 v12, v10, v11
	v_fma_f32 v13, -v9, v12, v10
	v_fmac_f32_e32 v12, v13, v11
	v_fma_f32 v9, -v9, v12, v10
	v_div_fmas_f32 v9, v9, v11, v12
	v_fma_f32 v10, v4, v7, v6
	v_fma_f32 v6, -v4, v6, v7
                                        ; implicit-def: $vgpr7
	v_div_fixup_f32 v5, v9, v5, 1.0
	v_mul_f32_e32 v4, v5, v10
	v_mul_f32_e32 v5, v5, v6
                                        ; implicit-def: $vgpr6
.LBB6_60:
	s_andn2_saveexec_b64 s[0:1], s[0:1]
	s_cbranch_execz .LBB6_62
; %bb.61:
	v_div_scale_f32 v4, s[2:3], 0, 0, v8
	v_div_scale_f32 v5, vcc, v8, 0, v8
	v_rcp_f32_e32 v9, v4
	v_fma_f32 v10, -v4, v9, 1.0
	v_fmac_f32_e32 v9, v10, v9
	v_mul_f32_e32 v10, v5, v9
	v_fma_f32 v11, -v4, v10, v5
	v_fmac_f32_e32 v10, v11, v9
	v_fma_f32 v4, -v4, v10, v5
	v_div_fmas_f32 v4, v4, v9, v10
	v_div_fixup_f32 v4, v4, 0, v8
	v_fma_f32 v5, v8, v4, 0
	v_div_scale_f32 v9, s[2:3], v5, v5, 1.0
	v_div_scale_f32 v10, vcc, 1.0, v5, 1.0
	v_rcp_f32_e32 v11, v9
	v_fma_f32 v12, -v9, v11, 1.0
	v_fmac_f32_e32 v11, v12, v11
	v_mul_f32_e32 v12, v10, v11
	v_fma_f32 v13, -v9, v12, v10
	v_fmac_f32_e32 v12, v13, v11
	v_fma_f32 v9, -v9, v12, v10
	v_div_fmas_f32 v9, v9, v11, v12
	v_fma_f32 v10, v4, v6, v7
	v_fma_f32 v6, v4, v7, -v6
	v_div_fixup_f32 v5, v9, v5, 1.0
	v_mul_f32_e32 v4, v5, v10
	v_mul_f32_e32 v5, v5, v6
.LBB6_62:
	s_or_b64 exec, exec, s[0:1]
	flat_store_dwordx2 v[2:3], v[4:5]
	v_mul_f32_e32 v2, 0, v17
	v_mul_f32_e32 v3, 0, v16
	v_fma_f32 v2, v8, v16, -v2
	v_fmac_f32_e32 v3, v8, v17
	flat_store_dwordx2 v[0:1], v[2:3]
.LBB6_63:
	s_endpgm
	.section	.rodata,"a",@progbits
	.p2align	6, 0x0
	.amdhsa_kernel _ZL19rocblas_rotg_kernelILi32EPKP19rocblas_complex_numIfEPKPfEvT0_llS8_llT1_llS8_lli
		.amdhsa_group_segment_fixed_size 0
		.amdhsa_private_segment_fixed_size 0
		.amdhsa_kernarg_size 100
		.amdhsa_user_sgpr_count 6
		.amdhsa_user_sgpr_private_segment_buffer 1
		.amdhsa_user_sgpr_dispatch_ptr 0
		.amdhsa_user_sgpr_queue_ptr 0
		.amdhsa_user_sgpr_kernarg_segment_ptr 1
		.amdhsa_user_sgpr_dispatch_id 0
		.amdhsa_user_sgpr_flat_scratch_init 0
		.amdhsa_user_sgpr_private_segment_size 0
		.amdhsa_uses_dynamic_stack 0
		.amdhsa_system_sgpr_private_segment_wavefront_offset 0
		.amdhsa_system_sgpr_workgroup_id_x 1
		.amdhsa_system_sgpr_workgroup_id_y 0
		.amdhsa_system_sgpr_workgroup_id_z 0
		.amdhsa_system_sgpr_workgroup_info 0
		.amdhsa_system_vgpr_workitem_id 0
		.amdhsa_next_free_vgpr 23
		.amdhsa_next_free_sgpr 20
		.amdhsa_reserve_vcc 1
		.amdhsa_reserve_flat_scratch 0
		.amdhsa_float_round_mode_32 0
		.amdhsa_float_round_mode_16_64 0
		.amdhsa_float_denorm_mode_32 3
		.amdhsa_float_denorm_mode_16_64 3
		.amdhsa_dx10_clamp 1
		.amdhsa_ieee_mode 1
		.amdhsa_fp16_overflow 0
		.amdhsa_exception_fp_ieee_invalid_op 0
		.amdhsa_exception_fp_denorm_src 0
		.amdhsa_exception_fp_ieee_div_zero 0
		.amdhsa_exception_fp_ieee_overflow 0
		.amdhsa_exception_fp_ieee_underflow 0
		.amdhsa_exception_fp_ieee_inexact 0
		.amdhsa_exception_int_div_zero 0
	.end_amdhsa_kernel
	.section	.text._ZL19rocblas_rotg_kernelILi32EPKP19rocblas_complex_numIfEPKPfEvT0_llS8_llT1_llS8_lli,"axG",@progbits,_ZL19rocblas_rotg_kernelILi32EPKP19rocblas_complex_numIfEPKPfEvT0_llS8_llT1_llS8_lli,comdat
.Lfunc_end6:
	.size	_ZL19rocblas_rotg_kernelILi32EPKP19rocblas_complex_numIfEPKPfEvT0_llS8_llT1_llS8_lli, .Lfunc_end6-_ZL19rocblas_rotg_kernelILi32EPKP19rocblas_complex_numIfEPKPfEvT0_llS8_llT1_llS8_lli
                                        ; -- End function
	.set _ZL19rocblas_rotg_kernelILi32EPKP19rocblas_complex_numIfEPKPfEvT0_llS8_llT1_llS8_lli.num_vgpr, 23
	.set _ZL19rocblas_rotg_kernelILi32EPKP19rocblas_complex_numIfEPKPfEvT0_llS8_llT1_llS8_lli.num_agpr, 0
	.set _ZL19rocblas_rotg_kernelILi32EPKP19rocblas_complex_numIfEPKPfEvT0_llS8_llT1_llS8_lli.numbered_sgpr, 20
	.set _ZL19rocblas_rotg_kernelILi32EPKP19rocblas_complex_numIfEPKPfEvT0_llS8_llT1_llS8_lli.num_named_barrier, 0
	.set _ZL19rocblas_rotg_kernelILi32EPKP19rocblas_complex_numIfEPKPfEvT0_llS8_llT1_llS8_lli.private_seg_size, 0
	.set _ZL19rocblas_rotg_kernelILi32EPKP19rocblas_complex_numIfEPKPfEvT0_llS8_llT1_llS8_lli.uses_vcc, 1
	.set _ZL19rocblas_rotg_kernelILi32EPKP19rocblas_complex_numIfEPKPfEvT0_llS8_llT1_llS8_lli.uses_flat_scratch, 0
	.set _ZL19rocblas_rotg_kernelILi32EPKP19rocblas_complex_numIfEPKPfEvT0_llS8_llT1_llS8_lli.has_dyn_sized_stack, 0
	.set _ZL19rocblas_rotg_kernelILi32EPKP19rocblas_complex_numIfEPKPfEvT0_llS8_llT1_llS8_lli.has_recursion, 0
	.set _ZL19rocblas_rotg_kernelILi32EPKP19rocblas_complex_numIfEPKPfEvT0_llS8_llT1_llS8_lli.has_indirect_call, 0
	.section	.AMDGPU.csdata,"",@progbits
; Kernel info:
; codeLenInByte = 5364
; TotalNumSgprs: 24
; NumVgprs: 23
; ScratchSize: 0
; MemoryBound: 0
; FloatMode: 240
; IeeeMode: 1
; LDSByteSize: 0 bytes/workgroup (compile time only)
; SGPRBlocks: 2
; VGPRBlocks: 5
; NumSGPRsForWavesPerEU: 24
; NumVGPRsForWavesPerEU: 23
; Occupancy: 10
; WaveLimiterHint : 1
; COMPUTE_PGM_RSRC2:SCRATCH_EN: 0
; COMPUTE_PGM_RSRC2:USER_SGPR: 6
; COMPUTE_PGM_RSRC2:TRAP_HANDLER: 0
; COMPUTE_PGM_RSRC2:TGID_X_EN: 1
; COMPUTE_PGM_RSRC2:TGID_Y_EN: 0
; COMPUTE_PGM_RSRC2:TGID_Z_EN: 0
; COMPUTE_PGM_RSRC2:TIDIG_COMP_CNT: 0
	.section	.text._ZL19rocblas_rotg_kernelILi32EPKP19rocblas_complex_numIdEPKPdEvT0_llS8_llT1_llS8_lli,"axG",@progbits,_ZL19rocblas_rotg_kernelILi32EPKP19rocblas_complex_numIdEPKPdEvT0_llS8_llT1_llS8_lli,comdat
	.globl	_ZL19rocblas_rotg_kernelILi32EPKP19rocblas_complex_numIdEPKPdEvT0_llS8_llT1_llS8_lli ; -- Begin function _ZL19rocblas_rotg_kernelILi32EPKP19rocblas_complex_numIdEPKPdEvT0_llS8_llT1_llS8_lli
	.p2align	8
	.type	_ZL19rocblas_rotg_kernelILi32EPKP19rocblas_complex_numIdEPKPdEvT0_llS8_llT1_llS8_lli,@function
_ZL19rocblas_rotg_kernelILi32EPKP19rocblas_complex_numIdEPKPdEvT0_llS8_llT1_llS8_lli: ; @_ZL19rocblas_rotg_kernelILi32EPKP19rocblas_complex_numIdEPKPdEvT0_llS8_llT1_llS8_lli
; %bb.0:
	s_load_dword s0, s[4:5], 0x60
	v_lshl_or_b32 v0, s6, 5, v0
	s_waitcnt lgkmcnt(0)
	v_cmp_gt_i32_e32 vcc, s0, v0
	s_and_saveexec_b64 s[0:1], vcc
	s_cbranch_execz .LBB7_63
; %bb.1:
	s_load_dwordx4 s[16:19], s[4:5], 0x0
	s_load_dwordx4 s[0:3], s[4:5], 0x18
	v_mov_b32_e32 v1, 0
	v_lshlrev_b64 v[4:5], 3, v[0:1]
                                        ; implicit-def: $vgpr18_vgpr19
	s_waitcnt lgkmcnt(0)
	v_mov_b32_e32 v1, s17
	v_add_co_u32_e32 v0, vcc, s16, v4
	v_addc_co_u32_e32 v1, vcc, v1, v5, vcc
	global_load_dwordx2 v[0:1], v[0:1], off
	s_load_dwordx4 s[12:15], s[4:5], 0x30
	s_load_dwordx4 s[8:11], s[4:5], 0x48
	s_lshl_b64 s[4:5], s[18:19], 4
	v_mov_b32_e32 v2, s5
	v_mov_b32_e32 v6, s1
	s_waitcnt lgkmcnt(0)
	v_mov_b32_e32 v7, s13
	v_mov_b32_e32 v10, s9
	s_waitcnt vmcnt(0)
	v_add_co_u32_e32 v8, vcc, s4, v0
	v_addc_co_u32_e32 v9, vcc, v1, v2, vcc
	flat_load_dwordx4 v[0:3], v[8:9]
	v_add_co_u32_e32 v12, vcc, s0, v4
	v_addc_co_u32_e32 v13, vcc, v6, v5, vcc
	v_add_co_u32_e32 v14, vcc, s12, v4
	v_addc_co_u32_e32 v15, vcc, v7, v5, vcc
	;; [unrolled: 2-line block ×3, first 2 shown]
	global_load_dwordx2 v[10:11], v[12:13], off
	global_load_dwordx2 v[6:7], v[14:15], off
	;; [unrolled: 1-line block ×3, first 2 shown]
	s_waitcnt vmcnt(0) lgkmcnt(0)
	v_cmp_gt_f64_e32 vcc, 0, v[0:1]
	v_xor_b32_e32 v13, 0x80000000, v1
	v_xor_b32_e32 v14, 0x80000000, v3
	v_mov_b32_e32 v12, v0
	v_cndmask_b32_e32 v13, v1, v13, vcc
	v_cmp_gt_f64_e32 vcc, 0, v[2:3]
	v_cndmask_b32_e32 v15, v3, v14, vcc
	v_mov_b32_e32 v14, v2
	v_cmp_ngt_f64_e64 s[0:1], v[12:13], v[14:15]
	s_and_saveexec_b64 s[4:5], s[0:1]
	s_xor_b64 s[4:5], exec, s[4:5]
	s_cbranch_execz .LBB7_5
; %bb.2:
	v_cmp_neq_f64_e32 vcc, 0, v[2:3]
	v_mov_b32_e32 v18, 0
	v_mov_b32_e32 v19, 0
	s_and_saveexec_b64 s[6:7], vcc
	s_cbranch_execz .LBB7_4
; %bb.3:
	v_div_scale_f64 v[16:17], s[8:9], v[14:15], v[14:15], v[12:13]
	s_mov_b32 s8, 0
	s_brev_b32 s9, 8
	v_rcp_f64_e32 v[18:19], v[16:17]
	v_fma_f64 v[20:21], -v[16:17], v[18:19], 1.0
	v_fma_f64 v[18:19], v[18:19], v[20:21], v[18:19]
	v_div_scale_f64 v[20:21], vcc, v[12:13], v[14:15], v[12:13]
	v_fma_f64 v[22:23], -v[16:17], v[18:19], 1.0
	v_fma_f64 v[18:19], v[18:19], v[22:23], v[18:19]
	v_mul_f64 v[22:23], v[20:21], v[18:19]
	v_fma_f64 v[16:17], -v[16:17], v[22:23], v[20:21]
	v_div_fmas_f64 v[16:17], v[16:17], v[18:19], v[22:23]
	v_mov_b32_e32 v18, 0x100
	v_div_fixup_f64 v[16:17], v[16:17], v[14:15], v[12:13]
	v_fma_f64 v[16:17], v[16:17], v[16:17], 1.0
	v_cmp_gt_f64_e32 vcc, s[8:9], v[16:17]
	v_cndmask_b32_e32 v18, 0, v18, vcc
	v_ldexp_f64 v[16:17], v[16:17], v18
	v_rsq_f64_e32 v[18:19], v[16:17]
	v_mul_f64 v[20:21], v[16:17], v[18:19]
	v_mul_f64 v[18:19], v[18:19], 0.5
	v_fma_f64 v[22:23], -v[18:19], v[20:21], 0.5
	v_fma_f64 v[20:21], v[20:21], v[22:23], v[20:21]
	v_fma_f64 v[18:19], v[18:19], v[22:23], v[18:19]
	v_fma_f64 v[22:23], -v[20:21], v[20:21], v[16:17]
	v_fma_f64 v[20:21], v[22:23], v[18:19], v[20:21]
	v_fma_f64 v[22:23], -v[20:21], v[20:21], v[16:17]
	v_fma_f64 v[18:19], v[22:23], v[18:19], v[20:21]
	v_mov_b32_e32 v20, 0xffffff80
	v_mov_b32_e32 v21, 0x260
	v_cndmask_b32_e32 v20, 0, v20, vcc
	v_cmp_class_f64_e32 vcc, v[16:17], v21
	v_ldexp_f64 v[18:19], v[18:19], v20
	v_cndmask_b32_e32 v17, v19, v17, vcc
	v_cndmask_b32_e32 v16, v18, v16, vcc
	v_mul_f64 v[18:19], v[14:15], v[16:17]
.LBB7_4:
	s_or_b64 exec, exec, s[6:7]
.LBB7_5:
	s_andn2_saveexec_b64 s[4:5], s[4:5]
	s_cbranch_execz .LBB7_7
; %bb.6:
	v_div_scale_f64 v[16:17], s[6:7], v[12:13], v[12:13], v[14:15]
	s_mov_b32 s6, 0
	s_brev_b32 s7, 8
	v_rcp_f64_e32 v[18:19], v[16:17]
	v_fma_f64 v[20:21], -v[16:17], v[18:19], 1.0
	v_fma_f64 v[18:19], v[18:19], v[20:21], v[18:19]
	v_div_scale_f64 v[20:21], vcc, v[14:15], v[12:13], v[14:15]
	v_fma_f64 v[22:23], -v[16:17], v[18:19], 1.0
	v_fma_f64 v[18:19], v[18:19], v[22:23], v[18:19]
	v_mul_f64 v[22:23], v[20:21], v[18:19]
	v_fma_f64 v[16:17], -v[16:17], v[22:23], v[20:21]
	v_div_fmas_f64 v[16:17], v[16:17], v[18:19], v[22:23]
	v_mov_b32_e32 v18, 0x100
	v_div_fixup_f64 v[16:17], v[16:17], v[12:13], v[14:15]
	v_fma_f64 v[16:17], v[16:17], v[16:17], 1.0
	v_cmp_gt_f64_e32 vcc, s[6:7], v[16:17]
	v_cndmask_b32_e32 v18, 0, v18, vcc
	v_ldexp_f64 v[16:17], v[16:17], v18
	v_rsq_f64_e32 v[18:19], v[16:17]
	v_mul_f64 v[20:21], v[16:17], v[18:19]
	v_mul_f64 v[18:19], v[18:19], 0.5
	v_fma_f64 v[22:23], -v[18:19], v[20:21], 0.5
	v_fma_f64 v[20:21], v[20:21], v[22:23], v[20:21]
	v_fma_f64 v[18:19], v[18:19], v[22:23], v[18:19]
	v_fma_f64 v[22:23], -v[20:21], v[20:21], v[16:17]
	v_fma_f64 v[20:21], v[22:23], v[18:19], v[20:21]
	v_fma_f64 v[22:23], -v[20:21], v[20:21], v[16:17]
	v_fma_f64 v[18:19], v[22:23], v[18:19], v[20:21]
	v_mov_b32_e32 v20, 0xffffff80
	v_mov_b32_e32 v21, 0x260
	v_cndmask_b32_e32 v20, 0, v20, vcc
	v_cmp_class_f64_e32 vcc, v[16:17], v21
	v_ldexp_f64 v[18:19], v[18:19], v20
	v_cndmask_b32_e32 v17, v19, v17, vcc
	v_cndmask_b32_e32 v16, v18, v16, vcc
	v_mul_f64 v[18:19], v[12:13], v[16:17]
.LBB7_7:
	s_or_b64 exec, exec, s[4:5]
	s_lshl_b64 s[2:3], s[2:3], 4
	v_mov_b32_e32 v17, s3
	v_add_co_u32_e32 v16, vcc, s2, v10
	v_addc_co_u32_e32 v17, vcc, v11, v17, vcc
	v_cmp_eq_f64_e32 vcc, 0, v[18:19]
	s_lshl_b64 s[2:3], s[14:15], 3
	v_mov_b32_e32 v10, s3
	v_add_co_u32_e64 v18, s[2:3], s2, v6
	v_addc_co_u32_e64 v19, s[2:3], v7, v10, s[2:3]
	s_lshl_b64 s[2:3], s[10:11], 4
	v_mov_b32_e32 v6, s3
	v_add_co_u32_e64 v10, s[2:3], s2, v4
	v_addc_co_u32_e64 v11, s[2:3], v5, v6, s[2:3]
	s_and_saveexec_b64 s[2:3], vcc
	s_xor_b64 s[2:3], exec, s[2:3]
	s_cbranch_execz .LBB7_9
; %bb.8:
	v_mov_b32_e32 v0, 0
	v_mov_b32_e32 v1, v0
	flat_store_dwordx2 v[18:19], v[0:1]
	v_mov_b32_e32 v1, 0x3ff00000
	v_mov_b32_e32 v2, v0
	v_mov_b32_e32 v3, v0
	flat_store_dwordx4 v[10:11], v[0:3]
	flat_load_dwordx4 v[0:3], v[16:17]
                                        ; implicit-def: $vgpr10_vgpr11
                                        ; implicit-def: $vgpr18_vgpr19
                                        ; implicit-def: $vgpr16_vgpr17
                                        ; implicit-def: $vgpr12_vgpr13
                                        ; implicit-def: $vgpr14_vgpr15
	s_waitcnt vmcnt(0) lgkmcnt(0)
	flat_store_dwordx4 v[8:9], v[0:3]
                                        ; implicit-def: $vgpr8_vgpr9
                                        ; implicit-def: $vgpr0_vgpr1
.LBB7_9:
	s_andn2_saveexec_b64 s[2:3], s[2:3]
	s_cbranch_execz .LBB7_63
; %bb.10:
                                        ; implicit-def: $vgpr20_vgpr21
	s_and_saveexec_b64 s[2:3], s[0:1]
	s_xor_b64 s[2:3], exec, s[2:3]
	s_cbranch_execz .LBB7_14
; %bb.11:
	v_cmp_neq_f64_e32 vcc, 0, v[2:3]
	v_mov_b32_e32 v20, 0
	v_mov_b32_e32 v21, 0
	s_and_saveexec_b64 s[4:5], vcc
	s_cbranch_execz .LBB7_13
; %bb.12:
	v_div_scale_f64 v[4:5], s[6:7], v[14:15], v[14:15], v[12:13]
	s_mov_b32 s6, 0
	s_brev_b32 s7, 8
	v_rcp_f64_e32 v[6:7], v[4:5]
	v_fma_f64 v[20:21], -v[4:5], v[6:7], 1.0
	v_fma_f64 v[6:7], v[6:7], v[20:21], v[6:7]
	v_div_scale_f64 v[20:21], vcc, v[12:13], v[14:15], v[12:13]
	v_fma_f64 v[22:23], -v[4:5], v[6:7], 1.0
	v_fma_f64 v[6:7], v[6:7], v[22:23], v[6:7]
	v_mul_f64 v[22:23], v[20:21], v[6:7]
	v_fma_f64 v[4:5], -v[4:5], v[22:23], v[20:21]
	v_div_fmas_f64 v[4:5], v[4:5], v[6:7], v[22:23]
	v_mov_b32_e32 v6, 0x100
	v_div_fixup_f64 v[4:5], v[4:5], v[14:15], v[12:13]
	v_fma_f64 v[4:5], v[4:5], v[4:5], 1.0
	v_cmp_gt_f64_e32 vcc, s[6:7], v[4:5]
	v_cndmask_b32_e32 v6, 0, v6, vcc
	v_ldexp_f64 v[4:5], v[4:5], v6
	v_rsq_f64_e32 v[6:7], v[4:5]
	v_mul_f64 v[20:21], v[4:5], v[6:7]
	v_mul_f64 v[6:7], v[6:7], 0.5
	v_fma_f64 v[22:23], -v[6:7], v[20:21], 0.5
	v_fma_f64 v[20:21], v[20:21], v[22:23], v[20:21]
	v_fma_f64 v[6:7], v[6:7], v[22:23], v[6:7]
	v_fma_f64 v[22:23], -v[20:21], v[20:21], v[4:5]
	v_fma_f64 v[20:21], v[22:23], v[6:7], v[20:21]
	v_fma_f64 v[22:23], -v[20:21], v[20:21], v[4:5]
	v_fma_f64 v[6:7], v[22:23], v[6:7], v[20:21]
	v_mov_b32_e32 v20, 0xffffff80
	v_mov_b32_e32 v21, 0x260
	v_cndmask_b32_e32 v20, 0, v20, vcc
	v_cmp_class_f64_e32 vcc, v[4:5], v21
	v_ldexp_f64 v[6:7], v[6:7], v20
	v_cndmask_b32_e32 v5, v7, v5, vcc
	v_cndmask_b32_e32 v4, v6, v4, vcc
	v_mul_f64 v[20:21], v[14:15], v[4:5]
.LBB7_13:
	s_or_b64 exec, exec, s[4:5]
.LBB7_14:
	s_andn2_saveexec_b64 s[2:3], s[2:3]
	s_cbranch_execz .LBB7_16
; %bb.15:
	v_div_scale_f64 v[4:5], s[4:5], v[12:13], v[12:13], v[14:15]
	s_mov_b32 s4, 0
	s_brev_b32 s5, 8
	v_rcp_f64_e32 v[6:7], v[4:5]
	v_fma_f64 v[20:21], -v[4:5], v[6:7], 1.0
	v_fma_f64 v[6:7], v[6:7], v[20:21], v[6:7]
	v_div_scale_f64 v[20:21], vcc, v[14:15], v[12:13], v[14:15]
	v_fma_f64 v[22:23], -v[4:5], v[6:7], 1.0
	v_fma_f64 v[6:7], v[6:7], v[22:23], v[6:7]
	v_mul_f64 v[22:23], v[20:21], v[6:7]
	v_fma_f64 v[4:5], -v[4:5], v[22:23], v[20:21]
	v_div_fmas_f64 v[4:5], v[4:5], v[6:7], v[22:23]
	v_mov_b32_e32 v6, 0x100
	v_div_fixup_f64 v[4:5], v[4:5], v[12:13], v[14:15]
	v_fma_f64 v[4:5], v[4:5], v[4:5], 1.0
	v_cmp_gt_f64_e32 vcc, s[4:5], v[4:5]
	v_cndmask_b32_e32 v6, 0, v6, vcc
	v_ldexp_f64 v[4:5], v[4:5], v6
	v_rsq_f64_e32 v[6:7], v[4:5]
	v_mul_f64 v[20:21], v[4:5], v[6:7]
	v_mul_f64 v[6:7], v[6:7], 0.5
	v_fma_f64 v[22:23], -v[6:7], v[20:21], 0.5
	v_fma_f64 v[20:21], v[20:21], v[22:23], v[20:21]
	v_fma_f64 v[6:7], v[6:7], v[22:23], v[6:7]
	v_fma_f64 v[22:23], -v[20:21], v[20:21], v[4:5]
	v_fma_f64 v[20:21], v[22:23], v[6:7], v[20:21]
	v_fma_f64 v[22:23], -v[20:21], v[20:21], v[4:5]
	v_fma_f64 v[6:7], v[22:23], v[6:7], v[20:21]
	v_mov_b32_e32 v20, 0xffffff80
	v_mov_b32_e32 v21, 0x260
	v_cndmask_b32_e32 v20, 0, v20, vcc
	v_cmp_class_f64_e32 vcc, v[4:5], v21
	v_ldexp_f64 v[6:7], v[6:7], v20
	v_cndmask_b32_e32 v5, v7, v5, vcc
	v_cndmask_b32_e32 v4, v6, v4, vcc
	v_mul_f64 v[20:21], v[12:13], v[4:5]
.LBB7_16:
	s_or_b64 exec, exec, s[2:3]
	flat_load_dwordx4 v[4:7], v[16:17]
                                        ; implicit-def: $vgpr26_vgpr27
	s_waitcnt vmcnt(0) lgkmcnt(0)
	v_cmp_gt_f64_e32 vcc, 0, v[4:5]
	v_xor_b32_e32 v23, 0x80000000, v5
	v_xor_b32_e32 v24, 0x80000000, v7
	v_mov_b32_e32 v22, v4
	v_cndmask_b32_e32 v23, v5, v23, vcc
	v_cmp_gt_f64_e32 vcc, 0, v[6:7]
	v_cndmask_b32_e32 v25, v7, v24, vcc
	v_mov_b32_e32 v24, v6
	v_cmp_ngt_f64_e32 vcc, v[22:23], v[24:25]
	s_and_saveexec_b64 s[2:3], vcc
	s_xor_b64 s[2:3], exec, s[2:3]
	s_cbranch_execz .LBB7_20
; %bb.17:
	v_cmp_neq_f64_e32 vcc, 0, v[6:7]
	v_mov_b32_e32 v26, 0
	v_mov_b32_e32 v27, 0
	s_and_saveexec_b64 s[4:5], vcc
	s_cbranch_execz .LBB7_19
; %bb.18:
	v_div_scale_f64 v[26:27], s[6:7], v[24:25], v[24:25], v[22:23]
	s_mov_b32 s6, 0
	s_brev_b32 s7, 8
	v_rcp_f64_e32 v[28:29], v[26:27]
	v_fma_f64 v[30:31], -v[26:27], v[28:29], 1.0
	v_fma_f64 v[28:29], v[28:29], v[30:31], v[28:29]
	v_div_scale_f64 v[30:31], vcc, v[22:23], v[24:25], v[22:23]
	v_fma_f64 v[32:33], -v[26:27], v[28:29], 1.0
	v_fma_f64 v[28:29], v[28:29], v[32:33], v[28:29]
	v_mul_f64 v[32:33], v[30:31], v[28:29]
	v_fma_f64 v[26:27], -v[26:27], v[32:33], v[30:31]
	v_div_fmas_f64 v[26:27], v[26:27], v[28:29], v[32:33]
	v_div_fixup_f64 v[22:23], v[26:27], v[24:25], v[22:23]
	v_mov_b32_e32 v26, 0x100
	v_fma_f64 v[22:23], v[22:23], v[22:23], 1.0
	v_cmp_gt_f64_e32 vcc, s[6:7], v[22:23]
	v_cndmask_b32_e32 v26, 0, v26, vcc
	v_ldexp_f64 v[22:23], v[22:23], v26
	v_rsq_f64_e32 v[26:27], v[22:23]
	v_mul_f64 v[28:29], v[22:23], v[26:27]
	v_mul_f64 v[26:27], v[26:27], 0.5
	v_fma_f64 v[30:31], -v[26:27], v[28:29], 0.5
	v_fma_f64 v[28:29], v[28:29], v[30:31], v[28:29]
	v_fma_f64 v[26:27], v[26:27], v[30:31], v[26:27]
	v_fma_f64 v[30:31], -v[28:29], v[28:29], v[22:23]
	v_fma_f64 v[28:29], v[30:31], v[26:27], v[28:29]
	v_fma_f64 v[30:31], -v[28:29], v[28:29], v[22:23]
	v_fma_f64 v[26:27], v[30:31], v[26:27], v[28:29]
	v_mov_b32_e32 v28, 0xffffff80
	v_mov_b32_e32 v29, 0x260
	v_cndmask_b32_e32 v28, 0, v28, vcc
	v_cmp_class_f64_e32 vcc, v[22:23], v29
	v_ldexp_f64 v[26:27], v[26:27], v28
	v_cndmask_b32_e32 v23, v27, v23, vcc
	v_cndmask_b32_e32 v22, v26, v22, vcc
	v_mul_f64 v[26:27], v[24:25], v[22:23]
.LBB7_19:
	s_or_b64 exec, exec, s[4:5]
                                        ; implicit-def: $vgpr22_vgpr23
                                        ; implicit-def: $vgpr24_vgpr25
.LBB7_20:
	s_andn2_saveexec_b64 s[2:3], s[2:3]
	s_cbranch_execz .LBB7_22
; %bb.21:
	v_div_scale_f64 v[26:27], s[4:5], v[22:23], v[22:23], v[24:25]
	s_mov_b32 s4, 0
	s_brev_b32 s5, 8
	v_rcp_f64_e32 v[28:29], v[26:27]
	v_fma_f64 v[30:31], -v[26:27], v[28:29], 1.0
	v_fma_f64 v[28:29], v[28:29], v[30:31], v[28:29]
	v_div_scale_f64 v[30:31], vcc, v[24:25], v[22:23], v[24:25]
	v_fma_f64 v[32:33], -v[26:27], v[28:29], 1.0
	v_fma_f64 v[28:29], v[28:29], v[32:33], v[28:29]
	v_mul_f64 v[32:33], v[30:31], v[28:29]
	v_fma_f64 v[26:27], -v[26:27], v[32:33], v[30:31]
	v_div_fmas_f64 v[26:27], v[26:27], v[28:29], v[32:33]
	v_div_fixup_f64 v[24:25], v[26:27], v[22:23], v[24:25]
	v_mov_b32_e32 v26, 0x100
	v_fma_f64 v[24:25], v[24:25], v[24:25], 1.0
	v_cmp_gt_f64_e32 vcc, s[4:5], v[24:25]
	v_cndmask_b32_e32 v26, 0, v26, vcc
	v_ldexp_f64 v[24:25], v[24:25], v26
	v_rsq_f64_e32 v[26:27], v[24:25]
	v_mul_f64 v[28:29], v[24:25], v[26:27]
	v_mul_f64 v[26:27], v[26:27], 0.5
	v_fma_f64 v[30:31], -v[26:27], v[28:29], 0.5
	v_fma_f64 v[28:29], v[28:29], v[30:31], v[28:29]
	v_fma_f64 v[26:27], v[26:27], v[30:31], v[26:27]
	v_fma_f64 v[30:31], -v[28:29], v[28:29], v[24:25]
	v_fma_f64 v[28:29], v[30:31], v[26:27], v[28:29]
	v_fma_f64 v[30:31], -v[28:29], v[28:29], v[24:25]
	v_fma_f64 v[26:27], v[30:31], v[26:27], v[28:29]
	v_mov_b32_e32 v28, 0xffffff80
	v_mov_b32_e32 v29, 0x260
	v_cndmask_b32_e32 v28, 0, v28, vcc
	v_cmp_class_f64_e32 vcc, v[24:25], v29
	v_ldexp_f64 v[26:27], v[26:27], v28
	v_cndmask_b32_e32 v25, v27, v25, vcc
	v_cndmask_b32_e32 v24, v26, v24, vcc
	v_mul_f64 v[26:27], v[22:23], v[24:25]
.LBB7_22:
	s_or_b64 exec, exec, s[2:3]
	v_add_f64 v[20:21], v[20:21], v[26:27]
                                        ; implicit-def: $vgpr24_vgpr25
                                        ; implicit-def: $vgpr28_vgpr29
	v_cmp_nlg_f64_e64 s[2:3], 0, v[20:21]
	s_and_saveexec_b64 s[4:5], s[2:3]
	s_xor_b64 s[4:5], exec, s[4:5]
	s_cbranch_execz .LBB7_24
; %bb.23:
	v_div_scale_f64 v[22:23], s[6:7], 0, 0, v[20:21]
	v_rcp_f64_e32 v[24:25], v[22:23]
	v_fma_f64 v[26:27], -v[22:23], v[24:25], 1.0
	v_fma_f64 v[24:25], v[24:25], v[26:27], v[24:25]
	v_div_scale_f64 v[26:27], vcc, v[20:21], 0, v[20:21]
	v_fma_f64 v[28:29], -v[22:23], v[24:25], 1.0
	v_fma_f64 v[24:25], v[24:25], v[28:29], v[24:25]
	v_mul_f64 v[28:29], v[26:27], v[24:25]
	v_fma_f64 v[22:23], -v[22:23], v[28:29], v[26:27]
	v_div_fmas_f64 v[22:23], v[22:23], v[24:25], v[28:29]
	v_div_fixup_f64 v[22:23], v[22:23], 0, v[20:21]
	v_fma_f64 v[24:25], v[20:21], v[22:23], 0
	v_div_scale_f64 v[26:27], s[6:7], v[24:25], v[24:25], 1.0
	v_rcp_f64_e32 v[28:29], v[26:27]
	v_fma_f64 v[30:31], -v[26:27], v[28:29], 1.0
	v_fma_f64 v[28:29], v[28:29], v[30:31], v[28:29]
	v_div_scale_f64 v[30:31], vcc, 1.0, v[24:25], 1.0
	v_fma_f64 v[32:33], -v[26:27], v[28:29], 1.0
	v_fma_f64 v[28:29], v[28:29], v[32:33], v[28:29]
	v_mul_f64 v[32:33], v[30:31], v[28:29]
	v_fma_f64 v[26:27], -v[26:27], v[32:33], v[30:31]
	v_div_fmas_f64 v[26:27], v[26:27], v[28:29], v[32:33]
	v_fma_f64 v[28:29], v[0:1], v[22:23], v[2:3]
	v_fma_f64 v[22:23], v[2:3], v[22:23], -v[0:1]
	v_div_fixup_f64 v[26:27], v[26:27], v[24:25], 1.0
	v_mul_f64 v[24:25], v[28:29], v[26:27]
	v_mul_f64 v[28:29], v[22:23], v[26:27]
.LBB7_24:
	s_andn2_saveexec_b64 s[4:5], s[4:5]
	s_cbranch_execz .LBB7_26
; %bb.25:
	v_div_scale_f64 v[22:23], s[6:7], v[20:21], v[20:21], 0
	v_rcp_f64_e32 v[24:25], v[22:23]
	v_fma_f64 v[26:27], -v[22:23], v[24:25], 1.0
	v_fma_f64 v[24:25], v[24:25], v[26:27], v[24:25]
	v_div_scale_f64 v[26:27], vcc, 0, v[20:21], 0
	v_fma_f64 v[28:29], -v[22:23], v[24:25], 1.0
	v_fma_f64 v[24:25], v[24:25], v[28:29], v[24:25]
	v_mul_f64 v[28:29], v[26:27], v[24:25]
	v_fma_f64 v[22:23], -v[22:23], v[28:29], v[26:27]
	v_div_fmas_f64 v[22:23], v[22:23], v[24:25], v[28:29]
	v_div_fixup_f64 v[22:23], v[22:23], v[20:21], 0
	v_fma_f64 v[24:25], v[22:23], 0, v[20:21]
	v_div_scale_f64 v[26:27], s[6:7], v[24:25], v[24:25], 1.0
	v_rcp_f64_e32 v[28:29], v[26:27]
	v_fma_f64 v[30:31], -v[26:27], v[28:29], 1.0
	v_fma_f64 v[28:29], v[28:29], v[30:31], v[28:29]
	v_div_scale_f64 v[30:31], vcc, 1.0, v[24:25], 1.0
	v_fma_f64 v[32:33], -v[26:27], v[28:29], 1.0
	v_fma_f64 v[28:29], v[28:29], v[32:33], v[28:29]
	v_mul_f64 v[32:33], v[30:31], v[28:29]
	v_fma_f64 v[26:27], -v[26:27], v[32:33], v[30:31]
	v_div_fmas_f64 v[26:27], v[26:27], v[28:29], v[32:33]
	v_fma_f64 v[28:29], v[2:3], v[22:23], v[0:1]
	v_fma_f64 v[22:23], -v[0:1], v[22:23], v[2:3]
	v_div_fixup_f64 v[26:27], v[26:27], v[24:25], 1.0
	v_mul_f64 v[24:25], v[28:29], v[26:27]
	v_mul_f64 v[28:29], v[22:23], v[26:27]
.LBB7_26:
	s_or_b64 exec, exec, s[4:5]
	v_cmp_gt_f64_e32 vcc, 0, v[24:25]
	v_xor_b32_e32 v22, 0x80000000, v25
	v_mov_b32_e32 v26, v28
	v_cndmask_b32_e32 v25, v25, v22, vcc
	v_cmp_gt_f64_e32 vcc, 0, v[28:29]
	v_xor_b32_e32 v22, 0x80000000, v29
	v_cndmask_b32_e32 v27, v29, v22, vcc
	v_cmp_ngt_f64_e32 vcc, v[24:25], v[26:27]
                                        ; implicit-def: $vgpr22_vgpr23
	s_and_saveexec_b64 s[4:5], vcc
	s_xor_b64 s[4:5], exec, s[4:5]
	s_cbranch_execz .LBB7_30
; %bb.27:
	v_cmp_neq_f64_e32 vcc, 0, v[28:29]
	v_mov_b32_e32 v22, 0
	v_mov_b32_e32 v23, 0
	s_and_saveexec_b64 s[6:7], vcc
	s_cbranch_execz .LBB7_29
; %bb.28:
	v_div_scale_f64 v[22:23], s[8:9], v[26:27], v[26:27], v[24:25]
	s_mov_b32 s8, 0
	s_brev_b32 s9, 8
	v_rcp_f64_e32 v[28:29], v[22:23]
	v_fma_f64 v[30:31], -v[22:23], v[28:29], 1.0
	v_fma_f64 v[28:29], v[28:29], v[30:31], v[28:29]
	v_div_scale_f64 v[30:31], vcc, v[24:25], v[26:27], v[24:25]
	v_fma_f64 v[32:33], -v[22:23], v[28:29], 1.0
	v_fma_f64 v[28:29], v[28:29], v[32:33], v[28:29]
	v_mul_f64 v[32:33], v[30:31], v[28:29]
	v_fma_f64 v[22:23], -v[22:23], v[32:33], v[30:31]
	v_div_fmas_f64 v[22:23], v[22:23], v[28:29], v[32:33]
	v_div_fixup_f64 v[22:23], v[22:23], v[26:27], v[24:25]
	v_mov_b32_e32 v24, 0x100
	v_fma_f64 v[22:23], v[22:23], v[22:23], 1.0
	v_cmp_gt_f64_e32 vcc, s[8:9], v[22:23]
	v_cndmask_b32_e32 v24, 0, v24, vcc
	v_ldexp_f64 v[22:23], v[22:23], v24
	v_rsq_f64_e32 v[24:25], v[22:23]
	v_mul_f64 v[28:29], v[22:23], v[24:25]
	v_mul_f64 v[24:25], v[24:25], 0.5
	v_fma_f64 v[30:31], -v[24:25], v[28:29], 0.5
	v_fma_f64 v[28:29], v[28:29], v[30:31], v[28:29]
	v_fma_f64 v[24:25], v[24:25], v[30:31], v[24:25]
	v_fma_f64 v[30:31], -v[28:29], v[28:29], v[22:23]
	v_fma_f64 v[28:29], v[30:31], v[24:25], v[28:29]
	v_fma_f64 v[30:31], -v[28:29], v[28:29], v[22:23]
	v_fma_f64 v[24:25], v[30:31], v[24:25], v[28:29]
	v_mov_b32_e32 v28, 0xffffff80
	v_mov_b32_e32 v29, 0x260
	v_cndmask_b32_e32 v28, 0, v28, vcc
	v_cmp_class_f64_e32 vcc, v[22:23], v29
	v_ldexp_f64 v[24:25], v[24:25], v28
	v_cndmask_b32_e32 v23, v25, v23, vcc
	v_cndmask_b32_e32 v22, v24, v22, vcc
	v_mul_f64 v[22:23], v[26:27], v[22:23]
.LBB7_29:
	s_or_b64 exec, exec, s[6:7]
                                        ; implicit-def: $vgpr24_vgpr25
                                        ; implicit-def: $vgpr26_vgpr27
	s_andn2_saveexec_b64 s[4:5], s[4:5]
	s_cbranch_execz .LBB7_32
	s_branch .LBB7_31
.LBB7_30:
	s_andn2_saveexec_b64 s[4:5], s[4:5]
	s_cbranch_execz .LBB7_32
.LBB7_31:
	v_div_scale_f64 v[22:23], s[6:7], v[24:25], v[24:25], v[26:27]
	s_mov_b32 s6, 0
	s_brev_b32 s7, 8
	v_rcp_f64_e32 v[28:29], v[22:23]
	v_fma_f64 v[30:31], -v[22:23], v[28:29], 1.0
	v_fma_f64 v[28:29], v[28:29], v[30:31], v[28:29]
	v_div_scale_f64 v[30:31], vcc, v[26:27], v[24:25], v[26:27]
	v_fma_f64 v[32:33], -v[22:23], v[28:29], 1.0
	v_fma_f64 v[28:29], v[28:29], v[32:33], v[28:29]
	v_mul_f64 v[32:33], v[30:31], v[28:29]
	v_fma_f64 v[22:23], -v[22:23], v[32:33], v[30:31]
	v_div_fmas_f64 v[22:23], v[22:23], v[28:29], v[32:33]
	v_div_fixup_f64 v[22:23], v[22:23], v[24:25], v[26:27]
	v_mov_b32_e32 v26, 0x100
	v_fma_f64 v[22:23], v[22:23], v[22:23], 1.0
	v_cmp_gt_f64_e32 vcc, s[6:7], v[22:23]
	v_cndmask_b32_e32 v26, 0, v26, vcc
	v_ldexp_f64 v[22:23], v[22:23], v26
	v_rsq_f64_e32 v[26:27], v[22:23]
	v_mul_f64 v[28:29], v[22:23], v[26:27]
	v_mul_f64 v[26:27], v[26:27], 0.5
	v_fma_f64 v[30:31], -v[26:27], v[28:29], 0.5
	v_fma_f64 v[28:29], v[28:29], v[30:31], v[28:29]
	v_fma_f64 v[26:27], v[26:27], v[30:31], v[26:27]
	v_fma_f64 v[30:31], -v[28:29], v[28:29], v[22:23]
	v_fma_f64 v[28:29], v[30:31], v[26:27], v[28:29]
	v_fma_f64 v[30:31], -v[28:29], v[28:29], v[22:23]
	v_fma_f64 v[26:27], v[30:31], v[26:27], v[28:29]
	v_mov_b32_e32 v28, 0xffffff80
	v_mov_b32_e32 v29, 0x260
	v_cndmask_b32_e32 v28, 0, v28, vcc
	v_cmp_class_f64_e32 vcc, v[22:23], v29
	v_ldexp_f64 v[26:27], v[26:27], v28
	v_cndmask_b32_e32 v23, v27, v23, vcc
	v_cndmask_b32_e32 v22, v26, v22, vcc
	v_mul_f64 v[22:23], v[24:25], v[22:23]
.LBB7_32:
	s_or_b64 exec, exec, s[4:5]
                                        ; implicit-def: $vgpr24_vgpr25
                                        ; implicit-def: $vgpr26_vgpr27
	s_and_saveexec_b64 s[4:5], s[2:3]
	s_xor_b64 s[2:3], exec, s[4:5]
	s_cbranch_execz .LBB7_34
; %bb.33:
	v_div_scale_f64 v[24:25], s[4:5], 0, 0, v[20:21]
	v_rcp_f64_e32 v[26:27], v[24:25]
	v_fma_f64 v[28:29], -v[24:25], v[26:27], 1.0
	v_fma_f64 v[26:27], v[26:27], v[28:29], v[26:27]
	v_div_scale_f64 v[28:29], vcc, v[20:21], 0, v[20:21]
	v_fma_f64 v[30:31], -v[24:25], v[26:27], 1.0
	v_fma_f64 v[26:27], v[26:27], v[30:31], v[26:27]
	v_mul_f64 v[30:31], v[28:29], v[26:27]
	v_fma_f64 v[24:25], -v[24:25], v[30:31], v[28:29]
	v_div_fmas_f64 v[24:25], v[24:25], v[26:27], v[30:31]
	v_div_fixup_f64 v[24:25], v[24:25], 0, v[20:21]
	v_fma_f64 v[26:27], v[20:21], v[24:25], 0
	v_div_scale_f64 v[28:29], s[4:5], v[26:27], v[26:27], 1.0
	v_rcp_f64_e32 v[30:31], v[28:29]
	v_fma_f64 v[32:33], -v[28:29], v[30:31], 1.0
	v_fma_f64 v[30:31], v[30:31], v[32:33], v[30:31]
	v_div_scale_f64 v[32:33], vcc, 1.0, v[26:27], 1.0
	v_fma_f64 v[34:35], -v[28:29], v[30:31], 1.0
	v_fma_f64 v[30:31], v[30:31], v[34:35], v[30:31]
	v_mul_f64 v[34:35], v[32:33], v[30:31]
	v_fma_f64 v[28:29], -v[28:29], v[34:35], v[32:33]
	v_div_fmas_f64 v[28:29], v[28:29], v[30:31], v[34:35]
	v_fma_f64 v[30:31], v[4:5], v[24:25], v[6:7]
	v_fma_f64 v[4:5], v[6:7], v[24:25], -v[4:5]
	v_div_fixup_f64 v[26:27], v[28:29], v[26:27], 1.0
	v_mul_f64 v[24:25], v[30:31], v[26:27]
	v_mul_f64 v[26:27], v[4:5], v[26:27]
                                        ; implicit-def: $vgpr6_vgpr7
	s_andn2_saveexec_b64 s[2:3], s[2:3]
	s_cbranch_execnz .LBB7_35
	s_branch .LBB7_36
.LBB7_34:
	s_andn2_saveexec_b64 s[2:3], s[2:3]
	s_cbranch_execz .LBB7_36
.LBB7_35:
	v_div_scale_f64 v[24:25], s[4:5], v[20:21], v[20:21], 0
	v_rcp_f64_e32 v[26:27], v[24:25]
	v_fma_f64 v[28:29], -v[24:25], v[26:27], 1.0
	v_fma_f64 v[26:27], v[26:27], v[28:29], v[26:27]
	v_div_scale_f64 v[28:29], vcc, 0, v[20:21], 0
	v_fma_f64 v[30:31], -v[24:25], v[26:27], 1.0
	v_fma_f64 v[26:27], v[26:27], v[30:31], v[26:27]
	v_mul_f64 v[30:31], v[28:29], v[26:27]
	v_fma_f64 v[24:25], -v[24:25], v[30:31], v[28:29]
	v_div_fmas_f64 v[24:25], v[24:25], v[26:27], v[30:31]
	v_div_fixup_f64 v[24:25], v[24:25], v[20:21], 0
	v_fma_f64 v[26:27], v[24:25], 0, v[20:21]
	v_div_scale_f64 v[28:29], s[4:5], v[26:27], v[26:27], 1.0
	v_rcp_f64_e32 v[30:31], v[28:29]
	v_fma_f64 v[32:33], -v[28:29], v[30:31], 1.0
	v_fma_f64 v[30:31], v[30:31], v[32:33], v[30:31]
	v_div_scale_f64 v[32:33], vcc, 1.0, v[26:27], 1.0
	v_fma_f64 v[34:35], -v[28:29], v[30:31], 1.0
	v_fma_f64 v[30:31], v[30:31], v[34:35], v[30:31]
	v_mul_f64 v[34:35], v[32:33], v[30:31]
	v_fma_f64 v[28:29], -v[28:29], v[34:35], v[32:33]
	v_div_fmas_f64 v[28:29], v[28:29], v[30:31], v[34:35]
	v_fma_f64 v[30:31], v[6:7], v[24:25], v[4:5]
	v_fma_f64 v[4:5], -v[4:5], v[24:25], v[6:7]
	v_div_fixup_f64 v[26:27], v[28:29], v[26:27], 1.0
	v_mul_f64 v[24:25], v[30:31], v[26:27]
	v_mul_f64 v[26:27], v[4:5], v[26:27]
.LBB7_36:
	s_or_b64 exec, exec, s[2:3]
	v_cmp_gt_f64_e32 vcc, 0, v[24:25]
	v_xor_b32_e32 v4, 0x80000000, v25
	v_mov_b32_e32 v6, v26
	v_cndmask_b32_e32 v25, v25, v4, vcc
	v_cmp_gt_f64_e32 vcc, 0, v[26:27]
	v_xor_b32_e32 v4, 0x80000000, v27
	v_cndmask_b32_e32 v7, v27, v4, vcc
	v_cmp_ngt_f64_e32 vcc, v[24:25], v[6:7]
                                        ; implicit-def: $vgpr4_vgpr5
	s_and_saveexec_b64 s[2:3], vcc
	s_xor_b64 s[2:3], exec, s[2:3]
	s_cbranch_execz .LBB7_40
; %bb.37:
	v_cmp_neq_f64_e32 vcc, 0, v[26:27]
	v_mov_b32_e32 v4, 0
	v_mov_b32_e32 v5, 0
	s_and_saveexec_b64 s[4:5], vcc
	s_cbranch_execz .LBB7_39
; %bb.38:
	v_div_scale_f64 v[4:5], s[6:7], v[6:7], v[6:7], v[24:25]
	s_mov_b32 s6, 0
	s_brev_b32 s7, 8
	v_rcp_f64_e32 v[26:27], v[4:5]
	v_fma_f64 v[28:29], -v[4:5], v[26:27], 1.0
	v_fma_f64 v[26:27], v[26:27], v[28:29], v[26:27]
	v_div_scale_f64 v[28:29], vcc, v[24:25], v[6:7], v[24:25]
	v_fma_f64 v[30:31], -v[4:5], v[26:27], 1.0
	v_fma_f64 v[26:27], v[26:27], v[30:31], v[26:27]
	v_mul_f64 v[30:31], v[28:29], v[26:27]
	v_fma_f64 v[4:5], -v[4:5], v[30:31], v[28:29]
	v_div_fmas_f64 v[4:5], v[4:5], v[26:27], v[30:31]
	v_div_fixup_f64 v[4:5], v[4:5], v[6:7], v[24:25]
	v_mov_b32_e32 v24, 0x100
	v_fma_f64 v[4:5], v[4:5], v[4:5], 1.0
	v_cmp_gt_f64_e32 vcc, s[6:7], v[4:5]
	v_cndmask_b32_e32 v24, 0, v24, vcc
	v_ldexp_f64 v[4:5], v[4:5], v24
	v_rsq_f64_e32 v[24:25], v[4:5]
	v_mul_f64 v[26:27], v[4:5], v[24:25]
	v_mul_f64 v[24:25], v[24:25], 0.5
	v_fma_f64 v[28:29], -v[24:25], v[26:27], 0.5
	v_fma_f64 v[26:27], v[26:27], v[28:29], v[26:27]
	v_fma_f64 v[24:25], v[24:25], v[28:29], v[24:25]
	v_fma_f64 v[28:29], -v[26:27], v[26:27], v[4:5]
	v_fma_f64 v[26:27], v[28:29], v[24:25], v[26:27]
	v_fma_f64 v[28:29], -v[26:27], v[26:27], v[4:5]
	v_fma_f64 v[24:25], v[28:29], v[24:25], v[26:27]
	v_mov_b32_e32 v26, 0xffffff80
	v_mov_b32_e32 v27, 0x260
	v_cndmask_b32_e32 v26, 0, v26, vcc
	v_cmp_class_f64_e32 vcc, v[4:5], v27
	v_ldexp_f64 v[24:25], v[24:25], v26
	v_cndmask_b32_e32 v5, v25, v5, vcc
	v_cndmask_b32_e32 v4, v24, v4, vcc
	v_mul_f64 v[4:5], v[6:7], v[4:5]
.LBB7_39:
	s_or_b64 exec, exec, s[4:5]
                                        ; implicit-def: $vgpr24_vgpr25
                                        ; implicit-def: $vgpr6_vgpr7
	s_andn2_saveexec_b64 s[2:3], s[2:3]
	s_cbranch_execz .LBB7_42
	s_branch .LBB7_41
.LBB7_40:
	s_andn2_saveexec_b64 s[2:3], s[2:3]
	s_cbranch_execz .LBB7_42
.LBB7_41:
	v_div_scale_f64 v[4:5], s[4:5], v[24:25], v[24:25], v[6:7]
	s_mov_b32 s4, 0
	s_brev_b32 s5, 8
	v_rcp_f64_e32 v[26:27], v[4:5]
	v_fma_f64 v[28:29], -v[4:5], v[26:27], 1.0
	v_fma_f64 v[26:27], v[26:27], v[28:29], v[26:27]
	v_div_scale_f64 v[28:29], vcc, v[6:7], v[24:25], v[6:7]
	v_fma_f64 v[30:31], -v[4:5], v[26:27], 1.0
	v_fma_f64 v[26:27], v[26:27], v[30:31], v[26:27]
	v_mul_f64 v[30:31], v[28:29], v[26:27]
	v_fma_f64 v[4:5], -v[4:5], v[30:31], v[28:29]
	v_div_fmas_f64 v[4:5], v[4:5], v[26:27], v[30:31]
	v_div_fixup_f64 v[4:5], v[4:5], v[24:25], v[6:7]
	v_mov_b32_e32 v6, 0x100
	v_fma_f64 v[4:5], v[4:5], v[4:5], 1.0
	v_cmp_gt_f64_e32 vcc, s[4:5], v[4:5]
	v_cndmask_b32_e32 v6, 0, v6, vcc
	v_ldexp_f64 v[4:5], v[4:5], v6
	v_rsq_f64_e32 v[6:7], v[4:5]
	v_mul_f64 v[26:27], v[4:5], v[6:7]
	v_mul_f64 v[6:7], v[6:7], 0.5
	v_fma_f64 v[28:29], -v[6:7], v[26:27], 0.5
	v_fma_f64 v[26:27], v[26:27], v[28:29], v[26:27]
	v_fma_f64 v[6:7], v[6:7], v[28:29], v[6:7]
	v_fma_f64 v[28:29], -v[26:27], v[26:27], v[4:5]
	v_fma_f64 v[26:27], v[28:29], v[6:7], v[26:27]
	v_fma_f64 v[28:29], -v[26:27], v[26:27], v[4:5]
	v_fma_f64 v[6:7], v[28:29], v[6:7], v[26:27]
	v_mov_b32_e32 v26, 0xffffff80
	v_mov_b32_e32 v27, 0x260
	v_cndmask_b32_e32 v26, 0, v26, vcc
	v_cmp_class_f64_e32 vcc, v[4:5], v27
	v_ldexp_f64 v[6:7], v[6:7], v26
	v_cndmask_b32_e32 v5, v7, v5, vcc
	v_cndmask_b32_e32 v4, v6, v4, vcc
	v_mul_f64 v[4:5], v[24:25], v[4:5]
.LBB7_42:
	s_or_b64 exec, exec, s[2:3]
                                        ; implicit-def: $vgpr26_vgpr27
	s_and_saveexec_b64 s[2:3], s[0:1]
	s_xor_b64 s[2:3], exec, s[2:3]
	s_cbranch_execz .LBB7_46
; %bb.43:
	v_cmp_neq_f64_e32 vcc, 0, v[2:3]
	v_mov_b32_e32 v26, 0
	v_mov_b32_e32 v27, 0
	s_and_saveexec_b64 s[4:5], vcc
	s_cbranch_execz .LBB7_45
; %bb.44:
	v_div_scale_f64 v[6:7], s[6:7], v[14:15], v[14:15], v[12:13]
	s_mov_b32 s6, 0
	s_brev_b32 s7, 8
	v_rcp_f64_e32 v[24:25], v[6:7]
	v_fma_f64 v[26:27], -v[6:7], v[24:25], 1.0
	v_fma_f64 v[24:25], v[24:25], v[26:27], v[24:25]
	v_div_scale_f64 v[26:27], vcc, v[12:13], v[14:15], v[12:13]
	v_fma_f64 v[28:29], -v[6:7], v[24:25], 1.0
	v_fma_f64 v[24:25], v[24:25], v[28:29], v[24:25]
	v_mul_f64 v[28:29], v[26:27], v[24:25]
	v_fma_f64 v[6:7], -v[6:7], v[28:29], v[26:27]
	v_div_fmas_f64 v[6:7], v[6:7], v[24:25], v[28:29]
	v_mov_b32_e32 v24, 0x100
	v_div_fixup_f64 v[6:7], v[6:7], v[14:15], v[12:13]
	v_fma_f64 v[6:7], v[6:7], v[6:7], 1.0
	v_cmp_gt_f64_e32 vcc, s[6:7], v[6:7]
	v_cndmask_b32_e32 v24, 0, v24, vcc
	v_ldexp_f64 v[6:7], v[6:7], v24
	v_rsq_f64_e32 v[24:25], v[6:7]
	v_mul_f64 v[26:27], v[6:7], v[24:25]
	v_mul_f64 v[24:25], v[24:25], 0.5
	v_fma_f64 v[28:29], -v[24:25], v[26:27], 0.5
	v_fma_f64 v[26:27], v[26:27], v[28:29], v[26:27]
	v_fma_f64 v[24:25], v[24:25], v[28:29], v[24:25]
	v_fma_f64 v[28:29], -v[26:27], v[26:27], v[6:7]
	v_fma_f64 v[26:27], v[28:29], v[24:25], v[26:27]
	v_fma_f64 v[28:29], -v[26:27], v[26:27], v[6:7]
	v_fma_f64 v[24:25], v[28:29], v[24:25], v[26:27]
	v_mov_b32_e32 v26, 0xffffff80
	v_mov_b32_e32 v27, 0x260
	v_cndmask_b32_e32 v26, 0, v26, vcc
	v_cmp_class_f64_e32 vcc, v[6:7], v27
	v_ldexp_f64 v[24:25], v[24:25], v26
	v_cndmask_b32_e32 v7, v25, v7, vcc
	v_cndmask_b32_e32 v6, v24, v6, vcc
	v_mul_f64 v[26:27], v[14:15], v[6:7]
.LBB7_45:
	s_or_b64 exec, exec, s[4:5]
	s_andn2_saveexec_b64 s[2:3], s[2:3]
	s_cbranch_execnz .LBB7_47
	s_branch .LBB7_48
.LBB7_46:
	s_andn2_saveexec_b64 s[2:3], s[2:3]
	s_cbranch_execz .LBB7_48
.LBB7_47:
	v_div_scale_f64 v[6:7], s[4:5], v[12:13], v[12:13], v[14:15]
	s_mov_b32 s4, 0
	s_brev_b32 s5, 8
	v_rcp_f64_e32 v[24:25], v[6:7]
	v_fma_f64 v[26:27], -v[6:7], v[24:25], 1.0
	v_fma_f64 v[24:25], v[24:25], v[26:27], v[24:25]
	v_div_scale_f64 v[26:27], vcc, v[14:15], v[12:13], v[14:15]
	v_fma_f64 v[28:29], -v[6:7], v[24:25], 1.0
	v_fma_f64 v[24:25], v[24:25], v[28:29], v[24:25]
	v_mul_f64 v[28:29], v[26:27], v[24:25]
	v_fma_f64 v[6:7], -v[6:7], v[28:29], v[26:27]
	v_div_fmas_f64 v[6:7], v[6:7], v[24:25], v[28:29]
	v_mov_b32_e32 v24, 0x100
	v_div_fixup_f64 v[6:7], v[6:7], v[12:13], v[14:15]
	v_fma_f64 v[6:7], v[6:7], v[6:7], 1.0
	v_cmp_gt_f64_e32 vcc, s[4:5], v[6:7]
	v_cndmask_b32_e32 v24, 0, v24, vcc
	v_ldexp_f64 v[6:7], v[6:7], v24
	v_rsq_f64_e32 v[24:25], v[6:7]
	v_mul_f64 v[26:27], v[6:7], v[24:25]
	v_mul_f64 v[24:25], v[24:25], 0.5
	v_fma_f64 v[28:29], -v[24:25], v[26:27], 0.5
	v_fma_f64 v[26:27], v[26:27], v[28:29], v[26:27]
	v_fma_f64 v[24:25], v[24:25], v[28:29], v[24:25]
	v_fma_f64 v[28:29], -v[26:27], v[26:27], v[6:7]
	v_fma_f64 v[26:27], v[28:29], v[24:25], v[26:27]
	v_fma_f64 v[28:29], -v[26:27], v[26:27], v[6:7]
	v_fma_f64 v[24:25], v[28:29], v[24:25], v[26:27]
	v_mov_b32_e32 v26, 0xffffff80
	v_mov_b32_e32 v27, 0x260
	v_cndmask_b32_e32 v26, 0, v26, vcc
	v_cmp_class_f64_e32 vcc, v[6:7], v27
	v_ldexp_f64 v[24:25], v[24:25], v26
	v_cndmask_b32_e32 v7, v25, v7, vcc
	v_cndmask_b32_e32 v6, v24, v6, vcc
	v_mul_f64 v[26:27], v[12:13], v[6:7]
.LBB7_48:
	s_or_b64 exec, exec, s[2:3]
	v_cmp_lg_f64_e32 vcc, 0, v[26:27]
                                        ; implicit-def: $vgpr6_vgpr7
                                        ; implicit-def: $vgpr24_vgpr25
	s_and_saveexec_b64 s[2:3], vcc
	s_xor_b64 s[2:3], exec, s[2:3]
	s_cbranch_execz .LBB7_50
; %bb.49:
	v_div_scale_f64 v[6:7], s[4:5], v[26:27], v[26:27], 0
	v_rcp_f64_e32 v[24:25], v[6:7]
	v_fma_f64 v[28:29], -v[6:7], v[24:25], 1.0
	v_fma_f64 v[24:25], v[24:25], v[28:29], v[24:25]
	v_div_scale_f64 v[28:29], vcc, 0, v[26:27], 0
	v_fma_f64 v[30:31], -v[6:7], v[24:25], 1.0
	v_fma_f64 v[24:25], v[24:25], v[30:31], v[24:25]
	v_mul_f64 v[30:31], v[28:29], v[24:25]
	v_fma_f64 v[6:7], -v[6:7], v[30:31], v[28:29]
	v_div_fmas_f64 v[6:7], v[6:7], v[24:25], v[30:31]
	v_div_fixup_f64 v[6:7], v[6:7], v[26:27], 0
	v_fma_f64 v[24:25], v[6:7], 0, v[26:27]
	v_div_scale_f64 v[26:27], s[4:5], v[24:25], v[24:25], 1.0
	v_rcp_f64_e32 v[28:29], v[26:27]
	v_fma_f64 v[30:31], -v[26:27], v[28:29], 1.0
	v_fma_f64 v[28:29], v[28:29], v[30:31], v[28:29]
	v_div_scale_f64 v[30:31], vcc, 1.0, v[24:25], 1.0
	v_fma_f64 v[32:33], -v[26:27], v[28:29], 1.0
	v_fma_f64 v[28:29], v[28:29], v[32:33], v[28:29]
	v_mul_f64 v[32:33], v[30:31], v[28:29]
	v_fma_f64 v[26:27], -v[26:27], v[32:33], v[30:31]
	v_div_fmas_f64 v[26:27], v[26:27], v[28:29], v[32:33]
	v_fma_f64 v[28:29], v[2:3], v[6:7], v[0:1]
	v_fma_f64 v[0:1], -v[0:1], v[6:7], v[2:3]
	v_div_fixup_f64 v[24:25], v[26:27], v[24:25], 1.0
                                        ; implicit-def: $vgpr26_vgpr27
	v_mul_f64 v[6:7], v[28:29], v[24:25]
	v_mul_f64 v[24:25], v[0:1], v[24:25]
	s_andn2_saveexec_b64 s[2:3], s[2:3]
	s_cbranch_execz .LBB7_52
	s_branch .LBB7_51
.LBB7_50:
	s_andn2_saveexec_b64 s[2:3], s[2:3]
	s_cbranch_execz .LBB7_52
.LBB7_51:
	v_div_scale_f64 v[6:7], s[4:5], 0, 0, v[26:27]
	v_rcp_f64_e32 v[24:25], v[6:7]
	v_fma_f64 v[28:29], -v[6:7], v[24:25], 1.0
	v_fma_f64 v[24:25], v[24:25], v[28:29], v[24:25]
	v_div_scale_f64 v[28:29], vcc, v[26:27], 0, v[26:27]
	v_fma_f64 v[30:31], -v[6:7], v[24:25], 1.0
	v_fma_f64 v[24:25], v[24:25], v[30:31], v[24:25]
	v_mul_f64 v[30:31], v[28:29], v[24:25]
	v_fma_f64 v[6:7], -v[6:7], v[30:31], v[28:29]
	v_div_fmas_f64 v[6:7], v[6:7], v[24:25], v[30:31]
	v_div_fixup_f64 v[6:7], v[6:7], 0, v[26:27]
	v_fma_f64 v[24:25], v[26:27], v[6:7], 0
	v_div_scale_f64 v[26:27], s[4:5], v[24:25], v[24:25], 1.0
	v_rcp_f64_e32 v[28:29], v[26:27]
	v_fma_f64 v[30:31], -v[26:27], v[28:29], 1.0
	v_fma_f64 v[28:29], v[28:29], v[30:31], v[28:29]
	v_div_scale_f64 v[30:31], vcc, 1.0, v[24:25], 1.0
	v_fma_f64 v[32:33], -v[26:27], v[28:29], 1.0
	v_fma_f64 v[28:29], v[28:29], v[32:33], v[28:29]
	v_mul_f64 v[32:33], v[30:31], v[28:29]
	v_fma_f64 v[26:27], -v[26:27], v[32:33], v[30:31]
	v_div_fmas_f64 v[26:27], v[26:27], v[28:29], v[32:33]
	v_fma_f64 v[28:29], v[0:1], v[6:7], v[2:3]
	v_fma_f64 v[0:1], v[2:3], v[6:7], -v[0:1]
	v_div_fixup_f64 v[24:25], v[26:27], v[24:25], 1.0
	v_mul_f64 v[6:7], v[28:29], v[24:25]
	v_mul_f64 v[24:25], v[0:1], v[24:25]
.LBB7_52:
	s_or_b64 exec, exec, s[2:3]
                                        ; implicit-def: $vgpr0_vgpr1
	s_and_saveexec_b64 s[2:3], s[0:1]
	s_xor_b64 s[0:1], exec, s[2:3]
	s_cbranch_execz .LBB7_56
; %bb.53:
	v_cmp_neq_f64_e32 vcc, 0, v[2:3]
	v_mov_b32_e32 v0, 0
	v_mov_b32_e32 v1, 0
	s_and_saveexec_b64 s[2:3], vcc
	s_cbranch_execz .LBB7_55
; %bb.54:
	v_div_scale_f64 v[0:1], s[4:5], v[14:15], v[14:15], v[12:13]
	s_mov_b32 s4, 0
	s_brev_b32 s5, 8
	v_rcp_f64_e32 v[2:3], v[0:1]
	v_fma_f64 v[26:27], -v[0:1], v[2:3], 1.0
	v_fma_f64 v[2:3], v[2:3], v[26:27], v[2:3]
	v_div_scale_f64 v[26:27], vcc, v[12:13], v[14:15], v[12:13]
	v_fma_f64 v[28:29], -v[0:1], v[2:3], 1.0
	v_fma_f64 v[2:3], v[2:3], v[28:29], v[2:3]
	v_mul_f64 v[28:29], v[26:27], v[2:3]
	v_fma_f64 v[0:1], -v[0:1], v[28:29], v[26:27]
	v_div_fmas_f64 v[0:1], v[0:1], v[2:3], v[28:29]
	v_mov_b32_e32 v2, 0x100
	v_div_fixup_f64 v[0:1], v[0:1], v[14:15], v[12:13]
	v_fma_f64 v[0:1], v[0:1], v[0:1], 1.0
	v_cmp_gt_f64_e32 vcc, s[4:5], v[0:1]
	v_cndmask_b32_e32 v2, 0, v2, vcc
	v_ldexp_f64 v[0:1], v[0:1], v2
	v_rsq_f64_e32 v[2:3], v[0:1]
	v_mul_f64 v[12:13], v[0:1], v[2:3]
	v_mul_f64 v[2:3], v[2:3], 0.5
	v_fma_f64 v[26:27], -v[2:3], v[12:13], 0.5
	v_fma_f64 v[12:13], v[12:13], v[26:27], v[12:13]
	v_fma_f64 v[2:3], v[2:3], v[26:27], v[2:3]
	v_fma_f64 v[26:27], -v[12:13], v[12:13], v[0:1]
	v_fma_f64 v[12:13], v[26:27], v[2:3], v[12:13]
	v_fma_f64 v[26:27], -v[12:13], v[12:13], v[0:1]
	v_fma_f64 v[2:3], v[26:27], v[2:3], v[12:13]
	v_mov_b32_e32 v12, 0xffffff80
	v_mov_b32_e32 v13, 0x260
	v_cndmask_b32_e32 v12, 0, v12, vcc
	v_cmp_class_f64_e32 vcc, v[0:1], v13
	v_ldexp_f64 v[2:3], v[2:3], v12
	v_cndmask_b32_e32 v1, v3, v1, vcc
	v_cndmask_b32_e32 v0, v2, v0, vcc
	v_mul_f64 v[0:1], v[14:15], v[0:1]
.LBB7_55:
	s_or_b64 exec, exec, s[2:3]
                                        ; implicit-def: $vgpr12_vgpr13
                                        ; implicit-def: $vgpr14_vgpr15
	s_andn2_saveexec_b64 s[0:1], s[0:1]
	s_cbranch_execnz .LBB7_57
	s_branch .LBB7_58
.LBB7_56:
	s_andn2_saveexec_b64 s[0:1], s[0:1]
	s_cbranch_execz .LBB7_58
.LBB7_57:
	v_div_scale_f64 v[0:1], s[2:3], v[12:13], v[12:13], v[14:15]
	s_mov_b32 s2, 0
	s_brev_b32 s3, 8
	v_rcp_f64_e32 v[2:3], v[0:1]
	v_fma_f64 v[26:27], -v[0:1], v[2:3], 1.0
	v_fma_f64 v[2:3], v[2:3], v[26:27], v[2:3]
	v_div_scale_f64 v[26:27], vcc, v[14:15], v[12:13], v[14:15]
	v_fma_f64 v[28:29], -v[0:1], v[2:3], 1.0
	v_fma_f64 v[2:3], v[2:3], v[28:29], v[2:3]
	v_mul_f64 v[28:29], v[26:27], v[2:3]
	v_fma_f64 v[0:1], -v[0:1], v[28:29], v[26:27]
	v_div_fmas_f64 v[0:1], v[0:1], v[2:3], v[28:29]
	v_mov_b32_e32 v2, 0x100
	v_div_fixup_f64 v[0:1], v[0:1], v[12:13], v[14:15]
	v_fma_f64 v[0:1], v[0:1], v[0:1], 1.0
	v_cmp_gt_f64_e32 vcc, s[2:3], v[0:1]
	v_cndmask_b32_e32 v2, 0, v2, vcc
	v_ldexp_f64 v[0:1], v[0:1], v2
	v_rsq_f64_e32 v[2:3], v[0:1]
	v_mul_f64 v[14:15], v[0:1], v[2:3]
	v_mul_f64 v[2:3], v[2:3], 0.5
	v_fma_f64 v[26:27], -v[2:3], v[14:15], 0.5
	v_fma_f64 v[14:15], v[14:15], v[26:27], v[14:15]
	v_fma_f64 v[2:3], v[2:3], v[26:27], v[2:3]
	v_fma_f64 v[26:27], -v[14:15], v[14:15], v[0:1]
	v_fma_f64 v[14:15], v[26:27], v[2:3], v[14:15]
	v_fma_f64 v[26:27], -v[14:15], v[14:15], v[0:1]
	v_fma_f64 v[2:3], v[26:27], v[2:3], v[14:15]
	v_mov_b32_e32 v14, 0xffffff80
	v_mov_b32_e32 v15, 0x260
	v_cndmask_b32_e32 v14, 0, v14, vcc
	v_cmp_class_f64_e32 vcc, v[0:1], v15
	v_ldexp_f64 v[2:3], v[2:3], v14
	v_cndmask_b32_e32 v1, v3, v1, vcc
	v_cndmask_b32_e32 v0, v2, v0, vcc
	v_mul_f64 v[0:1], v[12:13], v[0:1]
.LBB7_58:
	s_or_b64 exec, exec, s[0:1]
	v_mul_f64 v[2:3], v[4:5], v[4:5]
	s_mov_b32 s0, 0
	s_brev_b32 s1, 8
	v_mov_b32_e32 v4, 0x100
	v_fma_f64 v[2:3], v[22:23], v[22:23], v[2:3]
	v_cmp_gt_f64_e32 vcc, s[0:1], v[2:3]
	v_cndmask_b32_e32 v4, 0, v4, vcc
	v_ldexp_f64 v[2:3], v[2:3], v4
	v_rsq_f64_e32 v[4:5], v[2:3]
	v_mul_f64 v[12:13], v[2:3], v[4:5]
	v_mul_f64 v[4:5], v[4:5], 0.5
	v_fma_f64 v[14:15], -v[4:5], v[12:13], 0.5
	v_fma_f64 v[12:13], v[12:13], v[14:15], v[12:13]
	v_fma_f64 v[4:5], v[4:5], v[14:15], v[4:5]
	v_fma_f64 v[14:15], -v[12:13], v[12:13], v[2:3]
	v_fma_f64 v[12:13], v[14:15], v[4:5], v[12:13]
	v_fma_f64 v[14:15], -v[12:13], v[12:13], v[2:3]
	v_fma_f64 v[4:5], v[14:15], v[4:5], v[12:13]
	v_mov_b32_e32 v12, 0xffffff80
	v_mov_b32_e32 v13, 0x260
	v_cndmask_b32_e32 v12, 0, v12, vcc
	v_cmp_class_f64_e32 vcc, v[2:3], v13
	v_ldexp_f64 v[4:5], v[4:5], v12
	v_cndmask_b32_e32 v3, v5, v3, vcc
	v_cndmask_b32_e32 v2, v4, v2, vcc
	v_mul_f64 v[4:5], v[20:21], v[2:3]
	v_div_scale_f64 v[2:3], s[0:1], v[4:5], v[4:5], v[0:1]
	v_rcp_f64_e32 v[12:13], v[2:3]
	v_fma_f64 v[14:15], -v[2:3], v[12:13], 1.0
	v_fma_f64 v[12:13], v[12:13], v[14:15], v[12:13]
	v_div_scale_f64 v[14:15], vcc, v[0:1], v[4:5], v[0:1]
	v_fma_f64 v[20:21], -v[2:3], v[12:13], 1.0
	v_fma_f64 v[12:13], v[12:13], v[20:21], v[12:13]
	v_mul_f64 v[20:21], v[14:15], v[12:13]
	v_fma_f64 v[2:3], -v[2:3], v[20:21], v[14:15]
	v_div_fmas_f64 v[2:3], v[2:3], v[12:13], v[20:21]
	v_cmp_lg_f64_e32 vcc, 0, v[4:5]
	v_div_fixup_f64 v[0:1], v[2:3], v[4:5], v[0:1]
	flat_store_dwordx2 v[18:19], v[0:1]
	flat_load_dwordx4 v[0:3], v[16:17]
	s_waitcnt vmcnt(0) lgkmcnt(0)
	v_mul_f64 v[12:13], v[24:25], v[2:3]
	v_mul_f64 v[2:3], v[6:7], v[2:3]
	v_fma_f64 v[12:13], v[6:7], v[0:1], v[12:13]
	v_fma_f64 v[14:15], v[24:25], v[0:1], -v[2:3]
                                        ; implicit-def: $vgpr0_vgpr1
	s_and_saveexec_b64 s[0:1], vcc
	s_xor_b64 s[0:1], exec, s[0:1]
	s_cbranch_execz .LBB7_60
; %bb.59:
	v_div_scale_f64 v[0:1], s[2:3], v[4:5], v[4:5], 0
	v_rcp_f64_e32 v[2:3], v[0:1]
	v_fma_f64 v[16:17], -v[0:1], v[2:3], 1.0
	v_fma_f64 v[2:3], v[2:3], v[16:17], v[2:3]
	v_div_scale_f64 v[16:17], vcc, 0, v[4:5], 0
	v_fma_f64 v[18:19], -v[0:1], v[2:3], 1.0
	v_fma_f64 v[2:3], v[2:3], v[18:19], v[2:3]
	v_mul_f64 v[18:19], v[16:17], v[2:3]
	v_fma_f64 v[0:1], -v[0:1], v[18:19], v[16:17]
	v_div_fmas_f64 v[0:1], v[0:1], v[2:3], v[18:19]
	v_div_fixup_f64 v[0:1], v[0:1], v[4:5], 0
	v_fma_f64 v[2:3], v[0:1], 0, v[4:5]
	v_div_scale_f64 v[16:17], s[2:3], v[2:3], v[2:3], 1.0
	v_rcp_f64_e32 v[18:19], v[16:17]
	v_fma_f64 v[20:21], -v[16:17], v[18:19], 1.0
	v_fma_f64 v[18:19], v[18:19], v[20:21], v[18:19]
	v_div_scale_f64 v[20:21], vcc, 1.0, v[2:3], 1.0
	v_fma_f64 v[22:23], -v[16:17], v[18:19], 1.0
	v_fma_f64 v[18:19], v[18:19], v[22:23], v[18:19]
	v_mul_f64 v[22:23], v[20:21], v[18:19]
	v_fma_f64 v[16:17], -v[16:17], v[22:23], v[20:21]
	v_div_fmas_f64 v[16:17], v[16:17], v[18:19], v[22:23]
	v_fma_f64 v[18:19], v[0:1], v[14:15], v[12:13]
	v_fma_f64 v[12:13], -v[0:1], v[12:13], v[14:15]
                                        ; implicit-def: $vgpr14_vgpr15
	v_div_fixup_f64 v[2:3], v[16:17], v[2:3], 1.0
	v_mul_f64 v[0:1], v[2:3], v[18:19]
	v_mul_f64 v[2:3], v[2:3], v[12:13]
                                        ; implicit-def: $vgpr12_vgpr13
.LBB7_60:
	s_andn2_saveexec_b64 s[0:1], s[0:1]
	s_cbranch_execz .LBB7_62
; %bb.61:
	v_div_scale_f64 v[0:1], s[2:3], 0, 0, v[4:5]
	v_rcp_f64_e32 v[2:3], v[0:1]
	v_fma_f64 v[16:17], -v[0:1], v[2:3], 1.0
	v_fma_f64 v[2:3], v[2:3], v[16:17], v[2:3]
	v_div_scale_f64 v[16:17], vcc, v[4:5], 0, v[4:5]
	v_fma_f64 v[18:19], -v[0:1], v[2:3], 1.0
	v_fma_f64 v[2:3], v[2:3], v[18:19], v[2:3]
	v_mul_f64 v[18:19], v[16:17], v[2:3]
	v_fma_f64 v[0:1], -v[0:1], v[18:19], v[16:17]
	v_div_fmas_f64 v[0:1], v[0:1], v[2:3], v[18:19]
	v_div_fixup_f64 v[0:1], v[0:1], 0, v[4:5]
	v_fma_f64 v[2:3], v[4:5], v[0:1], 0
	v_div_scale_f64 v[16:17], s[2:3], v[2:3], v[2:3], 1.0
	v_rcp_f64_e32 v[18:19], v[16:17]
	v_fma_f64 v[20:21], -v[16:17], v[18:19], 1.0
	v_fma_f64 v[18:19], v[18:19], v[20:21], v[18:19]
	v_div_scale_f64 v[20:21], vcc, 1.0, v[2:3], 1.0
	v_fma_f64 v[22:23], -v[16:17], v[18:19], 1.0
	v_fma_f64 v[18:19], v[18:19], v[22:23], v[18:19]
	v_mul_f64 v[22:23], v[20:21], v[18:19]
	v_fma_f64 v[16:17], -v[16:17], v[22:23], v[20:21]
	v_div_fmas_f64 v[16:17], v[16:17], v[18:19], v[22:23]
	v_fma_f64 v[18:19], v[0:1], v[12:13], v[14:15]
	v_fma_f64 v[12:13], v[0:1], v[14:15], -v[12:13]
	v_div_fixup_f64 v[2:3], v[16:17], v[2:3], 1.0
	v_mul_f64 v[0:1], v[2:3], v[18:19]
	v_mul_f64 v[2:3], v[2:3], v[12:13]
.LBB7_62:
	s_or_b64 exec, exec, s[0:1]
	v_mul_f64 v[12:13], v[24:25], 0
	v_mul_f64 v[14:15], v[6:7], 0
	v_fma_f64 v[12:13], v[4:5], v[6:7], -v[12:13]
	v_fma_f64 v[14:15], v[4:5], v[24:25], v[14:15]
	flat_store_dwordx4 v[10:11], v[0:3]
	flat_store_dwordx4 v[8:9], v[12:15]
.LBB7_63:
	s_endpgm
	.section	.rodata,"a",@progbits
	.p2align	6, 0x0
	.amdhsa_kernel _ZL19rocblas_rotg_kernelILi32EPKP19rocblas_complex_numIdEPKPdEvT0_llS8_llT1_llS8_lli
		.amdhsa_group_segment_fixed_size 0
		.amdhsa_private_segment_fixed_size 0
		.amdhsa_kernarg_size 100
		.amdhsa_user_sgpr_count 6
		.amdhsa_user_sgpr_private_segment_buffer 1
		.amdhsa_user_sgpr_dispatch_ptr 0
		.amdhsa_user_sgpr_queue_ptr 0
		.amdhsa_user_sgpr_kernarg_segment_ptr 1
		.amdhsa_user_sgpr_dispatch_id 0
		.amdhsa_user_sgpr_flat_scratch_init 0
		.amdhsa_user_sgpr_private_segment_size 0
		.amdhsa_uses_dynamic_stack 0
		.amdhsa_system_sgpr_private_segment_wavefront_offset 0
		.amdhsa_system_sgpr_workgroup_id_x 1
		.amdhsa_system_sgpr_workgroup_id_y 0
		.amdhsa_system_sgpr_workgroup_id_z 0
		.amdhsa_system_sgpr_workgroup_info 0
		.amdhsa_system_vgpr_workitem_id 0
		.amdhsa_next_free_vgpr 36
		.amdhsa_next_free_sgpr 20
		.amdhsa_reserve_vcc 1
		.amdhsa_reserve_flat_scratch 0
		.amdhsa_float_round_mode_32 0
		.amdhsa_float_round_mode_16_64 0
		.amdhsa_float_denorm_mode_32 3
		.amdhsa_float_denorm_mode_16_64 3
		.amdhsa_dx10_clamp 1
		.amdhsa_ieee_mode 1
		.amdhsa_fp16_overflow 0
		.amdhsa_exception_fp_ieee_invalid_op 0
		.amdhsa_exception_fp_denorm_src 0
		.amdhsa_exception_fp_ieee_div_zero 0
		.amdhsa_exception_fp_ieee_overflow 0
		.amdhsa_exception_fp_ieee_underflow 0
		.amdhsa_exception_fp_ieee_inexact 0
		.amdhsa_exception_int_div_zero 0
	.end_amdhsa_kernel
	.section	.text._ZL19rocblas_rotg_kernelILi32EPKP19rocblas_complex_numIdEPKPdEvT0_llS8_llT1_llS8_lli,"axG",@progbits,_ZL19rocblas_rotg_kernelILi32EPKP19rocblas_complex_numIdEPKPdEvT0_llS8_llT1_llS8_lli,comdat
.Lfunc_end7:
	.size	_ZL19rocblas_rotg_kernelILi32EPKP19rocblas_complex_numIdEPKPdEvT0_llS8_llT1_llS8_lli, .Lfunc_end7-_ZL19rocblas_rotg_kernelILi32EPKP19rocblas_complex_numIdEPKPdEvT0_llS8_llT1_llS8_lli
                                        ; -- End function
	.set _ZL19rocblas_rotg_kernelILi32EPKP19rocblas_complex_numIdEPKPdEvT0_llS8_llT1_llS8_lli.num_vgpr, 36
	.set _ZL19rocblas_rotg_kernelILi32EPKP19rocblas_complex_numIdEPKPdEvT0_llS8_llT1_llS8_lli.num_agpr, 0
	.set _ZL19rocblas_rotg_kernelILi32EPKP19rocblas_complex_numIdEPKPdEvT0_llS8_llT1_llS8_lli.numbered_sgpr, 20
	.set _ZL19rocblas_rotg_kernelILi32EPKP19rocblas_complex_numIdEPKPdEvT0_llS8_llT1_llS8_lli.num_named_barrier, 0
	.set _ZL19rocblas_rotg_kernelILi32EPKP19rocblas_complex_numIdEPKPdEvT0_llS8_llT1_llS8_lli.private_seg_size, 0
	.set _ZL19rocblas_rotg_kernelILi32EPKP19rocblas_complex_numIdEPKPdEvT0_llS8_llT1_llS8_lli.uses_vcc, 1
	.set _ZL19rocblas_rotg_kernelILi32EPKP19rocblas_complex_numIdEPKPdEvT0_llS8_llT1_llS8_lli.uses_flat_scratch, 0
	.set _ZL19rocblas_rotg_kernelILi32EPKP19rocblas_complex_numIdEPKPdEvT0_llS8_llT1_llS8_lli.has_dyn_sized_stack, 0
	.set _ZL19rocblas_rotg_kernelILi32EPKP19rocblas_complex_numIdEPKPdEvT0_llS8_llT1_llS8_lli.has_recursion, 0
	.set _ZL19rocblas_rotg_kernelILi32EPKP19rocblas_complex_numIdEPKPdEvT0_llS8_llT1_llS8_lli.has_indirect_call, 0
	.section	.AMDGPU.csdata,"",@progbits
; Kernel info:
; codeLenInByte = 6552
; TotalNumSgprs: 24
; NumVgprs: 36
; ScratchSize: 0
; MemoryBound: 0
; FloatMode: 240
; IeeeMode: 1
; LDSByteSize: 0 bytes/workgroup (compile time only)
; SGPRBlocks: 2
; VGPRBlocks: 8
; NumSGPRsForWavesPerEU: 24
; NumVGPRsForWavesPerEU: 36
; Occupancy: 7
; WaveLimiterHint : 1
; COMPUTE_PGM_RSRC2:SCRATCH_EN: 0
; COMPUTE_PGM_RSRC2:USER_SGPR: 6
; COMPUTE_PGM_RSRC2:TRAP_HANDLER: 0
; COMPUTE_PGM_RSRC2:TGID_X_EN: 1
; COMPUTE_PGM_RSRC2:TGID_Y_EN: 0
; COMPUTE_PGM_RSRC2:TGID_Z_EN: 0
; COMPUTE_PGM_RSRC2:TIDIG_COMP_CNT: 0
	.section	.AMDGPU.gpr_maximums,"",@progbits
	.set amdgpu.max_num_vgpr, 0
	.set amdgpu.max_num_agpr, 0
	.set amdgpu.max_num_sgpr, 0
	.section	.AMDGPU.csdata,"",@progbits
	.type	__hip_cuid_1180d8c03a03163a,@object ; @__hip_cuid_1180d8c03a03163a
	.section	.bss,"aw",@nobits
	.globl	__hip_cuid_1180d8c03a03163a
__hip_cuid_1180d8c03a03163a:
	.byte	0                               ; 0x0
	.size	__hip_cuid_1180d8c03a03163a, 1

	.ident	"AMD clang version 22.0.0git (https://github.com/RadeonOpenCompute/llvm-project roc-7.2.4 26084 f58b06dce1f9c15707c5f808fd002e18c2accf7e)"
	.section	".note.GNU-stack","",@progbits
	.addrsig
	.addrsig_sym __hip_cuid_1180d8c03a03163a
	.amdgpu_metadata
---
amdhsa.kernels:
  - .args:
      - .address_space:  global
        .offset:         0
        .size:           8
        .value_kind:     global_buffer
      - .offset:         8
        .size:           8
        .value_kind:     by_value
      - .offset:         16
        .size:           8
        .value_kind:     by_value
      - .address_space:  global
        .offset:         24
        .size:           8
        .value_kind:     global_buffer
      - .offset:         32
        .size:           8
        .value_kind:     by_value
      - .offset:         40
        .size:           8
        .value_kind:     by_value
      - .address_space:  global
        .offset:         48
        .size:           8
        .value_kind:     global_buffer
      - .offset:         56
        .size:           8
        .value_kind:     by_value
      - .offset:         64
        .size:           8
        .value_kind:     by_value
      - .address_space:  global
        .offset:         72
        .size:           8
        .value_kind:     global_buffer
      - .offset:         80
        .size:           8
        .value_kind:     by_value
      - .offset:         88
        .size:           8
        .value_kind:     by_value
      - .offset:         96
        .size:           4
        .value_kind:     by_value
    .group_segment_fixed_size: 0
    .kernarg_segment_align: 8
    .kernarg_segment_size: 100
    .language:       OpenCL C
    .language_version:
      - 2
      - 0
    .max_flat_workgroup_size: 32
    .name:           _ZL19rocblas_rotg_kernelILi32EPfS0_EvT0_llS1_llT1_llS1_lli
    .private_segment_fixed_size: 0
    .sgpr_count:     28
    .sgpr_spill_count: 0
    .symbol:         _ZL19rocblas_rotg_kernelILi32EPfS0_EvT0_llS1_llT1_llS1_lli.kd
    .uniform_work_group_size: 1
    .uses_dynamic_stack: false
    .vgpr_count:     22
    .vgpr_spill_count: 0
    .wavefront_size: 64
  - .args:
      - .address_space:  global
        .offset:         0
        .size:           8
        .value_kind:     global_buffer
      - .offset:         8
        .size:           8
        .value_kind:     by_value
      - .offset:         16
        .size:           8
        .value_kind:     by_value
      - .address_space:  global
        .offset:         24
        .size:           8
        .value_kind:     global_buffer
      - .offset:         32
        .size:           8
        .value_kind:     by_value
      - .offset:         40
        .size:           8
        .value_kind:     by_value
      - .address_space:  global
        .offset:         48
        .size:           8
        .value_kind:     global_buffer
      - .offset:         56
        .size:           8
        .value_kind:     by_value
      - .offset:         64
        .size:           8
        .value_kind:     by_value
      - .address_space:  global
        .offset:         72
        .size:           8
        .value_kind:     global_buffer
      - .offset:         80
        .size:           8
        .value_kind:     by_value
      - .offset:         88
        .size:           8
        .value_kind:     by_value
      - .offset:         96
        .size:           4
        .value_kind:     by_value
    .group_segment_fixed_size: 0
    .kernarg_segment_align: 8
    .kernarg_segment_size: 100
    .language:       OpenCL C
    .language_version:
      - 2
      - 0
    .max_flat_workgroup_size: 32
    .name:           _ZL19rocblas_rotg_kernelILi32EPdS0_EvT0_llS1_llT1_llS1_lli
    .private_segment_fixed_size: 0
    .sgpr_count:     28
    .sgpr_spill_count: 0
    .symbol:         _ZL19rocblas_rotg_kernelILi32EPdS0_EvT0_llS1_llT1_llS1_lli.kd
    .uniform_work_group_size: 1
    .uses_dynamic_stack: false
    .vgpr_count:     30
    .vgpr_spill_count: 0
    .wavefront_size: 64
  - .args:
      - .address_space:  global
        .offset:         0
        .size:           8
        .value_kind:     global_buffer
      - .offset:         8
        .size:           8
        .value_kind:     by_value
      - .offset:         16
        .size:           8
        .value_kind:     by_value
      - .address_space:  global
        .offset:         24
        .size:           8
        .value_kind:     global_buffer
      - .offset:         32
        .size:           8
        .value_kind:     by_value
      - .offset:         40
        .size:           8
        .value_kind:     by_value
      - .address_space:  global
        .offset:         48
        .size:           8
        .value_kind:     global_buffer
      - .offset:         56
        .size:           8
        .value_kind:     by_value
      - .offset:         64
        .size:           8
        .value_kind:     by_value
      - .address_space:  global
        .offset:         72
        .size:           8
        .value_kind:     global_buffer
      - .offset:         80
        .size:           8
        .value_kind:     by_value
      - .offset:         88
        .size:           8
        .value_kind:     by_value
      - .offset:         96
        .size:           4
        .value_kind:     by_value
    .group_segment_fixed_size: 0
    .kernarg_segment_align: 8
    .kernarg_segment_size: 100
    .language:       OpenCL C
    .language_version:
      - 2
      - 0
    .max_flat_workgroup_size: 32
    .name:           _ZL19rocblas_rotg_kernelILi32EP19rocblas_complex_numIfEPfEvT0_llS4_llT1_llS4_lli
    .private_segment_fixed_size: 0
    .sgpr_count:     36
    .sgpr_spill_count: 0
    .symbol:         _ZL19rocblas_rotg_kernelILi32EP19rocblas_complex_numIfEPfEvT0_llS4_llT1_llS4_lli.kd
    .uniform_work_group_size: 1
    .uses_dynamic_stack: false
    .vgpr_count:     23
    .vgpr_spill_count: 0
    .wavefront_size: 64
  - .args:
      - .address_space:  global
        .offset:         0
        .size:           8
        .value_kind:     global_buffer
      - .offset:         8
        .size:           8
        .value_kind:     by_value
      - .offset:         16
        .size:           8
        .value_kind:     by_value
      - .address_space:  global
        .offset:         24
        .size:           8
        .value_kind:     global_buffer
      - .offset:         32
        .size:           8
        .value_kind:     by_value
      - .offset:         40
        .size:           8
        .value_kind:     by_value
      - .address_space:  global
        .offset:         48
        .size:           8
        .value_kind:     global_buffer
      - .offset:         56
        .size:           8
        .value_kind:     by_value
      - .offset:         64
        .size:           8
        .value_kind:     by_value
      - .address_space:  global
        .offset:         72
        .size:           8
        .value_kind:     global_buffer
      - .offset:         80
        .size:           8
        .value_kind:     by_value
      - .offset:         88
        .size:           8
        .value_kind:     by_value
      - .offset:         96
        .size:           4
        .value_kind:     by_value
    .group_segment_fixed_size: 0
    .kernarg_segment_align: 8
    .kernarg_segment_size: 100
    .language:       OpenCL C
    .language_version:
      - 2
      - 0
    .max_flat_workgroup_size: 32
    .name:           _ZL19rocblas_rotg_kernelILi32EP19rocblas_complex_numIdEPdEvT0_llS4_llT1_llS4_lli
    .private_segment_fixed_size: 0
    .sgpr_count:     36
    .sgpr_spill_count: 0
    .symbol:         _ZL19rocblas_rotg_kernelILi32EP19rocblas_complex_numIdEPdEvT0_llS4_llT1_llS4_lli.kd
    .uniform_work_group_size: 1
    .uses_dynamic_stack: false
    .vgpr_count:     36
    .vgpr_spill_count: 0
    .wavefront_size: 64
  - .args:
      - .address_space:  global
        .offset:         0
        .size:           8
        .value_kind:     global_buffer
      - .offset:         8
        .size:           8
        .value_kind:     by_value
      - .offset:         16
        .size:           8
        .value_kind:     by_value
      - .address_space:  global
        .offset:         24
        .size:           8
        .value_kind:     global_buffer
      - .offset:         32
        .size:           8
        .value_kind:     by_value
      - .offset:         40
        .size:           8
        .value_kind:     by_value
      - .address_space:  global
        .offset:         48
        .size:           8
        .value_kind:     global_buffer
      - .offset:         56
        .size:           8
        .value_kind:     by_value
      - .offset:         64
        .size:           8
        .value_kind:     by_value
      - .address_space:  global
        .offset:         72
        .size:           8
        .value_kind:     global_buffer
      - .offset:         80
        .size:           8
        .value_kind:     by_value
      - .offset:         88
        .size:           8
        .value_kind:     by_value
      - .offset:         96
        .size:           4
        .value_kind:     by_value
    .group_segment_fixed_size: 0
    .kernarg_segment_align: 8
    .kernarg_segment_size: 100
    .language:       OpenCL C
    .language_version:
      - 2
      - 0
    .max_flat_workgroup_size: 32
    .name:           _ZL19rocblas_rotg_kernelILi32EPKPfS2_EvT0_llS3_llT1_llS3_lli
    .private_segment_fixed_size: 0
    .sgpr_count:     24
    .sgpr_spill_count: 0
    .symbol:         _ZL19rocblas_rotg_kernelILi32EPKPfS2_EvT0_llS3_llT1_llS3_lli.kd
    .uniform_work_group_size: 1
    .uses_dynamic_stack: false
    .vgpr_count:     22
    .vgpr_spill_count: 0
    .wavefront_size: 64
  - .args:
      - .address_space:  global
        .offset:         0
        .size:           8
        .value_kind:     global_buffer
      - .offset:         8
        .size:           8
        .value_kind:     by_value
      - .offset:         16
        .size:           8
        .value_kind:     by_value
      - .address_space:  global
        .offset:         24
        .size:           8
        .value_kind:     global_buffer
      - .offset:         32
        .size:           8
        .value_kind:     by_value
      - .offset:         40
        .size:           8
        .value_kind:     by_value
      - .address_space:  global
        .offset:         48
        .size:           8
        .value_kind:     global_buffer
      - .offset:         56
        .size:           8
        .value_kind:     by_value
      - .offset:         64
        .size:           8
        .value_kind:     by_value
      - .address_space:  global
        .offset:         72
        .size:           8
        .value_kind:     global_buffer
      - .offset:         80
        .size:           8
        .value_kind:     by_value
      - .offset:         88
        .size:           8
        .value_kind:     by_value
      - .offset:         96
        .size:           4
        .value_kind:     by_value
    .group_segment_fixed_size: 0
    .kernarg_segment_align: 8
    .kernarg_segment_size: 100
    .language:       OpenCL C
    .language_version:
      - 2
      - 0
    .max_flat_workgroup_size: 32
    .name:           _ZL19rocblas_rotg_kernelILi32EPKPdS2_EvT0_llS3_llT1_llS3_lli
    .private_segment_fixed_size: 0
    .sgpr_count:     16
    .sgpr_spill_count: 0
    .symbol:         _ZL19rocblas_rotg_kernelILi32EPKPdS2_EvT0_llS3_llT1_llS3_lli.kd
    .uniform_work_group_size: 1
    .uses_dynamic_stack: false
    .vgpr_count:     30
    .vgpr_spill_count: 0
    .wavefront_size: 64
  - .args:
      - .address_space:  global
        .offset:         0
        .size:           8
        .value_kind:     global_buffer
      - .offset:         8
        .size:           8
        .value_kind:     by_value
      - .offset:         16
        .size:           8
        .value_kind:     by_value
      - .address_space:  global
        .offset:         24
        .size:           8
        .value_kind:     global_buffer
      - .offset:         32
        .size:           8
        .value_kind:     by_value
      - .offset:         40
        .size:           8
        .value_kind:     by_value
      - .address_space:  global
        .offset:         48
        .size:           8
        .value_kind:     global_buffer
      - .offset:         56
        .size:           8
        .value_kind:     by_value
      - .offset:         64
        .size:           8
        .value_kind:     by_value
      - .address_space:  global
        .offset:         72
        .size:           8
        .value_kind:     global_buffer
      - .offset:         80
        .size:           8
        .value_kind:     by_value
      - .offset:         88
        .size:           8
        .value_kind:     by_value
      - .offset:         96
        .size:           4
        .value_kind:     by_value
    .group_segment_fixed_size: 0
    .kernarg_segment_align: 8
    .kernarg_segment_size: 100
    .language:       OpenCL C
    .language_version:
      - 2
      - 0
    .max_flat_workgroup_size: 32
    .name:           _ZL19rocblas_rotg_kernelILi32EPKP19rocblas_complex_numIfEPKPfEvT0_llS8_llT1_llS8_lli
    .private_segment_fixed_size: 0
    .sgpr_count:     24
    .sgpr_spill_count: 0
    .symbol:         _ZL19rocblas_rotg_kernelILi32EPKP19rocblas_complex_numIfEPKPfEvT0_llS8_llT1_llS8_lli.kd
    .uniform_work_group_size: 1
    .uses_dynamic_stack: false
    .vgpr_count:     23
    .vgpr_spill_count: 0
    .wavefront_size: 64
  - .args:
      - .address_space:  global
        .offset:         0
        .size:           8
        .value_kind:     global_buffer
      - .offset:         8
        .size:           8
        .value_kind:     by_value
      - .offset:         16
        .size:           8
        .value_kind:     by_value
      - .address_space:  global
        .offset:         24
        .size:           8
        .value_kind:     global_buffer
      - .offset:         32
        .size:           8
        .value_kind:     by_value
      - .offset:         40
        .size:           8
        .value_kind:     by_value
      - .address_space:  global
        .offset:         48
        .size:           8
        .value_kind:     global_buffer
      - .offset:         56
        .size:           8
        .value_kind:     by_value
      - .offset:         64
        .size:           8
        .value_kind:     by_value
      - .address_space:  global
        .offset:         72
        .size:           8
        .value_kind:     global_buffer
      - .offset:         80
        .size:           8
        .value_kind:     by_value
      - .offset:         88
        .size:           8
        .value_kind:     by_value
      - .offset:         96
        .size:           4
        .value_kind:     by_value
    .group_segment_fixed_size: 0
    .kernarg_segment_align: 8
    .kernarg_segment_size: 100
    .language:       OpenCL C
    .language_version:
      - 2
      - 0
    .max_flat_workgroup_size: 32
    .name:           _ZL19rocblas_rotg_kernelILi32EPKP19rocblas_complex_numIdEPKPdEvT0_llS8_llT1_llS8_lli
    .private_segment_fixed_size: 0
    .sgpr_count:     24
    .sgpr_spill_count: 0
    .symbol:         _ZL19rocblas_rotg_kernelILi32EPKP19rocblas_complex_numIdEPKPdEvT0_llS8_llT1_llS8_lli.kd
    .uniform_work_group_size: 1
    .uses_dynamic_stack: false
    .vgpr_count:     36
    .vgpr_spill_count: 0
    .wavefront_size: 64
amdhsa.target:   amdgcn-amd-amdhsa--gfx906
amdhsa.version:
  - 1
  - 2
...

	.end_amdgpu_metadata
